;; amdgpu-corpus repo=zjin-lcf/HeCBench kind=compiled arch=gfx950 opt=O3
	.amdgcn_target "amdgcn-amd-amdhsa--gfx950"
	.amdhsa_code_object_version 6
	.text
	.protected	_Z22pad_projections_kernelPdiiii ; -- Begin function _Z22pad_projections_kernelPdiiii
	.globl	_Z22pad_projections_kernelPdiiii
	.p2align	8
	.type	_Z22pad_projections_kernelPdiiii,@function
_Z22pad_projections_kernelPdiiii:       ; @_Z22pad_projections_kernelPdiiii
; %bb.0:
	s_load_dword s3, s[0:1], 0x24
	s_load_dwordx4 s[4:7], s[0:1], 0x8
	s_waitcnt lgkmcnt(0)
	s_and_b32 s3, s3, 0xffff
	s_mul_i32 s2, s2, s3
	v_add_u32_e32 v0, s2, v0
	v_cmp_gt_i32_e32 vcc, s6, v0
	s_and_saveexec_b64 s[2:3], vcc
	s_cbranch_execz .LBB0_2
; %bb.1:
	s_load_dwordx2 s[0:1], s[0:1], 0x0
	s_mul_i32 s2, s7, s4
	v_add_u32_e32 v0, s2, v0
	v_mul_lo_u32 v0, v0, s5
	v_ashrrev_i32_e32 v1, 31, v0
	v_mov_b32_e32 v2, 0
	s_waitcnt lgkmcnt(0)
	v_lshl_add_u64 v[0:1], v[0:1], 3, s[0:1]
	v_mov_b32_e32 v3, v2
	global_store_dwordx2 v[0:1], v[2:3], off
.LBB0_2:
	s_endpgm
	.section	.rodata,"a",@progbits
	.p2align	6, 0x0
	.amdhsa_kernel _Z22pad_projections_kernelPdiiii
		.amdhsa_group_segment_fixed_size 0
		.amdhsa_private_segment_fixed_size 0
		.amdhsa_kernarg_size 280
		.amdhsa_user_sgpr_count 2
		.amdhsa_user_sgpr_dispatch_ptr 0
		.amdhsa_user_sgpr_queue_ptr 0
		.amdhsa_user_sgpr_kernarg_segment_ptr 1
		.amdhsa_user_sgpr_dispatch_id 0
		.amdhsa_user_sgpr_kernarg_preload_length 0
		.amdhsa_user_sgpr_kernarg_preload_offset 0
		.amdhsa_user_sgpr_private_segment_size 0
		.amdhsa_uses_dynamic_stack 0
		.amdhsa_enable_private_segment 0
		.amdhsa_system_sgpr_workgroup_id_x 1
		.amdhsa_system_sgpr_workgroup_id_y 0
		.amdhsa_system_sgpr_workgroup_id_z 0
		.amdhsa_system_sgpr_workgroup_info 0
		.amdhsa_system_vgpr_workitem_id 0
		.amdhsa_next_free_vgpr 4
		.amdhsa_next_free_sgpr 8
		.amdhsa_accum_offset 4
		.amdhsa_reserve_vcc 1
		.amdhsa_float_round_mode_32 0
		.amdhsa_float_round_mode_16_64 0
		.amdhsa_float_denorm_mode_32 3
		.amdhsa_float_denorm_mode_16_64 3
		.amdhsa_dx10_clamp 1
		.amdhsa_ieee_mode 1
		.amdhsa_fp16_overflow 0
		.amdhsa_tg_split 0
		.amdhsa_exception_fp_ieee_invalid_op 0
		.amdhsa_exception_fp_denorm_src 0
		.amdhsa_exception_fp_ieee_div_zero 0
		.amdhsa_exception_fp_ieee_overflow 0
		.amdhsa_exception_fp_ieee_underflow 0
		.amdhsa_exception_fp_ieee_inexact 0
		.amdhsa_exception_int_div_zero 0
	.end_amdhsa_kernel
	.text
.Lfunc_end0:
	.size	_Z22pad_projections_kernelPdiiii, .Lfunc_end0-_Z22pad_projections_kernelPdiiii
                                        ; -- End function
	.set _Z22pad_projections_kernelPdiiii.num_vgpr, 4
	.set _Z22pad_projections_kernelPdiiii.num_agpr, 0
	.set _Z22pad_projections_kernelPdiiii.numbered_sgpr, 8
	.set _Z22pad_projections_kernelPdiiii.num_named_barrier, 0
	.set _Z22pad_projections_kernelPdiiii.private_seg_size, 0
	.set _Z22pad_projections_kernelPdiiii.uses_vcc, 1
	.set _Z22pad_projections_kernelPdiiii.uses_flat_scratch, 0
	.set _Z22pad_projections_kernelPdiiii.has_dyn_sized_stack, 0
	.set _Z22pad_projections_kernelPdiiii.has_recursion, 0
	.set _Z22pad_projections_kernelPdiiii.has_indirect_call, 0
	.section	.AMDGPU.csdata,"",@progbits
; Kernel info:
; codeLenInByte = 108
; TotalNumSgprs: 14
; NumVgprs: 4
; NumAgprs: 0
; TotalNumVgprs: 4
; ScratchSize: 0
; MemoryBound: 0
; FloatMode: 240
; IeeeMode: 1
; LDSByteSize: 0 bytes/workgroup (compile time only)
; SGPRBlocks: 1
; VGPRBlocks: 0
; NumSGPRsForWavesPerEU: 14
; NumVGPRsForWavesPerEU: 4
; AccumOffset: 4
; Occupancy: 8
; WaveLimiterHint : 0
; COMPUTE_PGM_RSRC2:SCRATCH_EN: 0
; COMPUTE_PGM_RSRC2:USER_SGPR: 2
; COMPUTE_PGM_RSRC2:TRAP_HANDLER: 0
; COMPUTE_PGM_RSRC2:TGID_X_EN: 1
; COMPUTE_PGM_RSRC2:TGID_Y_EN: 0
; COMPUTE_PGM_RSRC2:TGID_Z_EN: 0
; COMPUTE_PGM_RSRC2:TIDIG_COMP_CNT: 0
; COMPUTE_PGM_RSRC3_GFX90A:ACCUM_OFFSET: 0
; COMPUTE_PGM_RSRC3_GFX90A:TG_SPLIT: 0
	.text
	.protected	_Z20map_boudaries_kernelPdiddd ; -- Begin function _Z20map_boudaries_kernelPdiddd
	.globl	_Z20map_boudaries_kernelPdiddd
	.p2align	8
	.type	_Z20map_boudaries_kernelPdiddd,@function
_Z20map_boudaries_kernelPdiddd:         ; @_Z20map_boudaries_kernelPdiddd
; %bb.0:
	s_load_dword s3, s[0:1], 0x34
	s_load_dword s4, s[0:1], 0x8
	s_waitcnt lgkmcnt(0)
	s_and_b32 s3, s3, 0xffff
	s_mul_i32 s2, s2, s3
	v_add_u32_e32 v0, s2, v0
	v_cmp_gt_i32_e32 vcc, s4, v0
	s_and_saveexec_b64 s[2:3], vcc
	s_cbranch_execz .LBB1_2
; %bb.1:
	s_load_dwordx2 s[2:3], s[0:1], 0x0
	s_load_dwordx4 s[4:7], s[0:1], 0x10
	s_load_dwordx2 s[8:9], s[0:1], 0x20
	v_cvt_f64_i32_e32 v[2:3], v0
	v_ashrrev_i32_e32 v1, 31, v0
	s_waitcnt lgkmcnt(0)
	v_lshl_add_u64 v[0:1], v[0:1], 3, s[2:3]
	v_add_f64 v[2:3], v[2:3], -s[4:5]
	v_mov_b64_e32 v[4:5], s[8:9]
	v_fmac_f64_e32 v[4:5], s[6:7], v[2:3]
	global_store_dwordx2 v[0:1], v[4:5], off
.LBB1_2:
	s_endpgm
	.section	.rodata,"a",@progbits
	.p2align	6, 0x0
	.amdhsa_kernel _Z20map_boudaries_kernelPdiddd
		.amdhsa_group_segment_fixed_size 0
		.amdhsa_private_segment_fixed_size 0
		.amdhsa_kernarg_size 296
		.amdhsa_user_sgpr_count 2
		.amdhsa_user_sgpr_dispatch_ptr 0
		.amdhsa_user_sgpr_queue_ptr 0
		.amdhsa_user_sgpr_kernarg_segment_ptr 1
		.amdhsa_user_sgpr_dispatch_id 0
		.amdhsa_user_sgpr_kernarg_preload_length 0
		.amdhsa_user_sgpr_kernarg_preload_offset 0
		.amdhsa_user_sgpr_private_segment_size 0
		.amdhsa_uses_dynamic_stack 0
		.amdhsa_enable_private_segment 0
		.amdhsa_system_sgpr_workgroup_id_x 1
		.amdhsa_system_sgpr_workgroup_id_y 0
		.amdhsa_system_sgpr_workgroup_id_z 0
		.amdhsa_system_sgpr_workgroup_info 0
		.amdhsa_system_vgpr_workitem_id 0
		.amdhsa_next_free_vgpr 6
		.amdhsa_next_free_sgpr 10
		.amdhsa_accum_offset 8
		.amdhsa_reserve_vcc 1
		.amdhsa_float_round_mode_32 0
		.amdhsa_float_round_mode_16_64 0
		.amdhsa_float_denorm_mode_32 3
		.amdhsa_float_denorm_mode_16_64 3
		.amdhsa_dx10_clamp 1
		.amdhsa_ieee_mode 1
		.amdhsa_fp16_overflow 0
		.amdhsa_tg_split 0
		.amdhsa_exception_fp_ieee_invalid_op 0
		.amdhsa_exception_fp_denorm_src 0
		.amdhsa_exception_fp_ieee_div_zero 0
		.amdhsa_exception_fp_ieee_overflow 0
		.amdhsa_exception_fp_ieee_underflow 0
		.amdhsa_exception_fp_ieee_inexact 0
		.amdhsa_exception_int_div_zero 0
	.end_amdhsa_kernel
	.text
.Lfunc_end1:
	.size	_Z20map_boudaries_kernelPdiddd, .Lfunc_end1-_Z20map_boudaries_kernelPdiddd
                                        ; -- End function
	.set _Z20map_boudaries_kernelPdiddd.num_vgpr, 6
	.set _Z20map_boudaries_kernelPdiddd.num_agpr, 0
	.set _Z20map_boudaries_kernelPdiddd.numbered_sgpr, 10
	.set _Z20map_boudaries_kernelPdiddd.num_named_barrier, 0
	.set _Z20map_boudaries_kernelPdiddd.private_seg_size, 0
	.set _Z20map_boudaries_kernelPdiddd.uses_vcc, 1
	.set _Z20map_boudaries_kernelPdiddd.uses_flat_scratch, 0
	.set _Z20map_boudaries_kernelPdiddd.has_dyn_sized_stack, 0
	.set _Z20map_boudaries_kernelPdiddd.has_recursion, 0
	.set _Z20map_boudaries_kernelPdiddd.has_indirect_call, 0
	.section	.AMDGPU.csdata,"",@progbits
; Kernel info:
; codeLenInByte = 120
; TotalNumSgprs: 16
; NumVgprs: 6
; NumAgprs: 0
; TotalNumVgprs: 6
; ScratchSize: 0
; MemoryBound: 0
; FloatMode: 240
; IeeeMode: 1
; LDSByteSize: 0 bytes/workgroup (compile time only)
; SGPRBlocks: 1
; VGPRBlocks: 0
; NumSGPRsForWavesPerEU: 16
; NumVGPRsForWavesPerEU: 6
; AccumOffset: 8
; Occupancy: 8
; WaveLimiterHint : 0
; COMPUTE_PGM_RSRC2:SCRATCH_EN: 0
; COMPUTE_PGM_RSRC2:USER_SGPR: 2
; COMPUTE_PGM_RSRC2:TRAP_HANDLER: 0
; COMPUTE_PGM_RSRC2:TGID_X_EN: 1
; COMPUTE_PGM_RSRC2:TGID_Y_EN: 0
; COMPUTE_PGM_RSRC2:TGID_Z_EN: 0
; COMPUTE_PGM_RSRC2:TIDIG_COMP_CNT: 0
; COMPUTE_PGM_RSRC3_GFX90A:ACCUM_OFFSET: 1
; COMPUTE_PGM_RSRC3_GFX90A:TG_SPLIT: 0
	.text
	.protected	_Z19rot_detector_kernelPdS_PKdS1_dddi ; -- Begin function _Z19rot_detector_kernelPdS_PKdS1_dddi
	.globl	_Z19rot_detector_kernelPdS_PKdS1_dddi
	.p2align	8
	.type	_Z19rot_detector_kernelPdS_PKdS1_dddi,@function
_Z19rot_detector_kernelPdS_PKdS1_dddi:  ; @_Z19rot_detector_kernelPdS_PKdS1_dddi
; %bb.0:
	s_load_dword s3, s[0:1], 0x4c
	s_load_dword s4, s[0:1], 0x38
	s_waitcnt lgkmcnt(0)
	s_and_b32 s3, s3, 0xffff
	s_mul_i32 s2, s2, s3
	v_add_u32_e32 v0, s2, v0
	v_cmp_gt_i32_e32 vcc, s4, v0
	s_and_saveexec_b64 s[2:3], vcc
	s_cbranch_execz .LBB2_18
; %bb.1:
	s_load_dwordx4 s[8:11], s[0:1], 0x10
	s_load_dwordx2 s[12:13], s[0:1], 0x30
	v_ashrrev_i32_e32 v1, 31, v0
	s_waitcnt lgkmcnt(0)
	v_lshl_add_u64 v[2:3], v[0:1], 3, s[8:9]
	global_load_dwordx2 v[8:9], v[2:3], off
	v_mov_b32_e32 v2, 0
	v_mov_b32_e32 v3, 0x41d00000
	v_cmp_nlt_f64_e64 s[8:9], |s[12:13]|, v[2:3]
	s_and_b64 vcc, exec, s[8:9]
	v_trig_preop_f64 v[6:7], |s[12:13]|, 0
	v_trig_preop_f64 v[4:5], |s[12:13]|, 1
	;; [unrolled: 1-line block ×3, first 2 shown]
	s_cbranch_vccz .LBB2_3
; %bb.2:
	v_mov_b32_e32 v10, 0
	s_and_b32 s2, s13, 0x7fffffff
	v_mov_b32_e32 v11, 0x7b000000
	v_mov_b32_e32 v12, 0xffffff80
	v_ldexp_f64 v[12:13], |s[12:13]|, v12
	v_mov_b32_e32 v14, s2
	v_cmp_ge_f64_e64 vcc, |s[12:13]|, v[10:11]
	v_mov_b32_e32 v10, s12
	s_mov_b32 s2, 0
	v_cndmask_b32_e32 v11, v14, v13, vcc
	v_cndmask_b32_e32 v10, v10, v12, vcc
	v_mul_f64 v[14:15], v[6:7], v[10:11]
	v_mul_f64 v[12:13], v[4:5], v[10:11]
	v_fma_f64 v[16:17], v[6:7], v[10:11], -v[14:15]
	v_add_f64 v[18:19], v[12:13], v[16:17]
	v_add_f64 v[26:27], v[18:19], -v[12:13]
	v_add_f64 v[16:17], v[16:17], -v[26:27]
	;; [unrolled: 1-line block ×4, first 2 shown]
	v_add_f64 v[16:17], v[16:17], v[26:27]
	v_fma_f64 v[12:13], v[4:5], v[10:11], -v[12:13]
	v_mul_f64 v[26:27], v[2:3], v[10:11]
	v_add_f64 v[28:29], v[26:27], v[12:13]
	v_add_f64 v[20:21], v[14:15], v[18:19]
	;; [unrolled: 1-line block ×3, first 2 shown]
	v_ldexp_f64 v[22:23], v[20:21], -2
	v_add_f64 v[14:15], v[20:21], -v[14:15]
	v_add_f64 v[20:21], v[30:31], -v[28:29]
	v_add_f64 v[16:17], v[16:17], -v[20:21]
	v_add_f64 v[20:21], v[30:31], -v[20:21]
	v_add_f64 v[20:21], v[28:29], -v[20:21]
	v_add_f64 v[16:17], v[16:17], v[20:21]
	v_add_f64 v[20:21], v[28:29], -v[26:27]
	v_add_f64 v[12:13], v[12:13], -v[20:21]
	;; [unrolled: 1-line block ×5, first 2 shown]
	v_add_f64 v[12:13], v[12:13], v[20:21]
	v_fract_f64_e32 v[24:25], v[22:23]
	v_add_f64 v[18:19], v[14:15], v[30:31]
	v_add_f64 v[12:13], v[12:13], v[16:17]
	v_fma_f64 v[10:11], v[2:3], v[10:11], -v[26:27]
	s_mov_b32 s3, 0x7ff00000
	v_add_f64 v[14:15], v[18:19], -v[14:15]
	v_add_f64 v[10:11], v[10:11], v[12:13]
	v_ldexp_f64 v[12:13], v[24:25], 2
	v_cmp_neq_f64_e64 vcc, |v[22:23]|, s[2:3]
	v_add_f64 v[14:15], v[30:31], -v[14:15]
	v_add_f64 v[10:11], v[14:15], v[10:11]
	v_cndmask_b32_e32 v13, 0, v13, vcc
	v_cndmask_b32_e32 v12, 0, v12, vcc
	v_add_f64 v[14:15], v[18:19], v[12:13]
	v_cmp_gt_f64_e32 vcc, 0, v[14:15]
	s_and_b64 s[2:3], vcc, exec
	s_mov_b32 s4, 0
	s_cselect_b32 s5, 0x40100000, 0
	v_add_f64 v[12:13], v[12:13], s[4:5]
	v_add_f64 v[14:15], v[18:19], v[12:13]
	v_cvt_i32_f64_e32 v16, v[14:15]
	v_cvt_f64_i32_e32 v[14:15], v16
	v_add_f64 v[12:13], v[12:13], -v[14:15]
	v_add_f64 v[14:15], v[18:19], v[12:13]
	v_cmp_le_f64_e32 vcc, 0.5, v[14:15]
	v_add_f64 v[12:13], v[14:15], -v[12:13]
	s_and_b64 s[2:3], vcc, exec
	v_add_f64 v[12:13], v[18:19], -v[12:13]
	s_cselect_b32 s5, 0x3ff00000, 0
	v_add_f64 v[10:11], v[10:11], v[12:13]
	v_addc_co_u32_e64 v20, s[2:3], 0, v16, vcc
	v_add_f64 v[12:13], v[14:15], -s[4:5]
	v_add_f64 v[14:15], v[12:13], v[10:11]
	s_mov_b32 s2, 0x54442d18
	v_add_f64 v[12:13], v[14:15], -v[12:13]
	s_mov_b32 s3, 0x3ff921fb
	v_add_f64 v[10:11], v[10:11], -v[12:13]
	v_mul_f64 v[12:13], v[14:15], s[2:3]
	s_mov_b32 s4, 0x33145c07
	v_fma_f64 v[16:17], v[14:15], s[2:3], -v[12:13]
	s_mov_b32 s5, 0x3c91a626
	v_fmac_f64_e32 v[16:17], s[4:5], v[14:15]
	v_fmac_f64_e32 v[16:17], s[2:3], v[10:11]
	v_add_f64 v[10:11], v[12:13], v[16:17]
	v_add_f64 v[12:13], v[10:11], -v[12:13]
	v_add_f64 v[12:13], v[16:17], -v[12:13]
	s_load_dwordx4 s[4:7], s[0:1], 0x20
	s_cbranch_execz .LBB2_4
	s_branch .LBB2_5
.LBB2_3:
                                        ; implicit-def: $vgpr20
                                        ; implicit-def: $vgpr10_vgpr11
                                        ; implicit-def: $vgpr12_vgpr13
	s_load_dwordx4 s[4:7], s[0:1], 0x20
.LBB2_4:
	v_mov_b32_e32 v10, 0x6dc9c883
	v_mov_b32_e32 v11, 0x3fe45f30
	v_mul_f64 v[10:11], |s[12:13]|, v[10:11]
	s_mov_b32 s2, 0x54442d18
	v_rndne_f64_e32 v[14:15], v[10:11]
	s_mov_b32 s3, 0xbff921fb
	v_mov_b64_e32 v[10:11], s[12:13]
	v_fma_f64 v[10:11], v[14:15], s[2:3], |v[10:11]|
	s_mov_b32 s3, 0xbc91a626
	s_mov_b32 s2, 0x33145c00
	v_mul_f64 v[16:17], v[14:15], s[2:3]
	v_add_f64 v[20:21], v[10:11], v[16:17]
	v_fma_f64 v[12:13], s[2:3], v[14:15], v[10:11]
	s_mov_b32 s3, 0x3c91a626
	v_add_f64 v[10:11], v[10:11], -v[20:21]
	v_fma_f64 v[18:19], s[2:3], v[14:15], v[16:17]
	v_add_f64 v[10:11], v[10:11], v[16:17]
	v_add_f64 v[16:17], v[20:21], -v[12:13]
	v_add_f64 v[10:11], v[16:17], v[10:11]
	s_mov_b32 s2, 0x252049c0
	v_add_f64 v[16:17], v[10:11], -v[18:19]
	s_mov_b32 s3, 0xb97b839a
	v_fmac_f64_e32 v[16:17], s[2:3], v[14:15]
	v_add_f64 v[10:11], v[12:13], v[16:17]
	v_add_f64 v[12:13], v[10:11], -v[12:13]
	v_add_f64 v[12:13], v[16:17], -v[12:13]
	v_cvt_i32_f64_e32 v20, v[14:15]
.LBB2_5:
	v_lshl_add_u64 v[14:15], v[0:1], 3, s[10:11]
	global_load_dwordx2 v[14:15], v[14:15], off
	s_load_dwordx2 s[10:11], s[0:1], 0x0
	s_and_b64 vcc, exec, s[8:9]
	s_cbranch_vccz .LBB2_7
; %bb.6:
	v_mov_b32_e32 v16, 0
	s_and_b32 s2, s13, 0x7fffffff
	v_mov_b32_e32 v17, 0x7b000000
	v_mov_b32_e32 v18, 0xffffff80
	v_ldexp_f64 v[18:19], |s[12:13]|, v18
	v_mov_b32_e32 v21, s2
	v_cmp_ge_f64_e64 vcc, |s[12:13]|, v[16:17]
	v_mov_b32_e32 v16, s12
	s_mov_b32 s2, 0
	v_cndmask_b32_e32 v17, v21, v19, vcc
	v_cndmask_b32_e32 v16, v16, v18, vcc
	v_mul_f64 v[22:23], v[6:7], v[16:17]
	v_mul_f64 v[18:19], v[4:5], v[16:17]
	v_fma_f64 v[24:25], v[6:7], v[16:17], -v[22:23]
	v_add_f64 v[26:27], v[18:19], v[24:25]
	v_add_f64 v[34:35], v[26:27], -v[18:19]
	v_add_f64 v[24:25], v[24:25], -v[34:35]
	;; [unrolled: 1-line block ×4, first 2 shown]
	v_add_f64 v[24:25], v[24:25], v[34:35]
	v_fma_f64 v[18:19], v[4:5], v[16:17], -v[18:19]
	v_mul_f64 v[34:35], v[2:3], v[16:17]
	v_add_f64 v[36:37], v[34:35], v[18:19]
	v_add_f64 v[28:29], v[22:23], v[26:27]
	v_add_f64 v[38:39], v[36:37], v[24:25]
	v_ldexp_f64 v[30:31], v[28:29], -2
	v_add_f64 v[22:23], v[28:29], -v[22:23]
	v_add_f64 v[28:29], v[38:39], -v[36:37]
	;; [unrolled: 1-line block ×5, first 2 shown]
	v_add_f64 v[24:25], v[24:25], v[28:29]
	v_add_f64 v[28:29], v[36:37], -v[34:35]
	v_add_f64 v[18:19], v[18:19], -v[28:29]
	;; [unrolled: 1-line block ×5, first 2 shown]
	v_add_f64 v[18:19], v[18:19], v[28:29]
	v_fract_f64_e32 v[32:33], v[30:31]
	v_add_f64 v[26:27], v[22:23], v[38:39]
	v_add_f64 v[18:19], v[18:19], v[24:25]
	v_fma_f64 v[16:17], v[2:3], v[16:17], -v[34:35]
	s_mov_b32 s3, 0x7ff00000
	v_add_f64 v[22:23], v[26:27], -v[22:23]
	v_add_f64 v[16:17], v[16:17], v[18:19]
	v_ldexp_f64 v[18:19], v[32:33], 2
	v_cmp_neq_f64_e64 vcc, |v[30:31]|, s[2:3]
	v_add_f64 v[22:23], v[38:39], -v[22:23]
	v_add_f64 v[16:17], v[22:23], v[16:17]
	v_cndmask_b32_e32 v19, 0, v19, vcc
	v_cndmask_b32_e32 v18, 0, v18, vcc
	v_add_f64 v[22:23], v[26:27], v[18:19]
	v_cmp_gt_f64_e32 vcc, 0, v[22:23]
	s_and_b64 s[14:15], vcc, exec
	s_mov_b32 s16, 0
	s_cselect_b32 s17, 0x40100000, 0
	v_add_f64 v[18:19], v[18:19], s[16:17]
	v_add_f64 v[22:23], v[26:27], v[18:19]
	v_cvt_i32_f64_e32 v21, v[22:23]
	v_cvt_f64_i32_e32 v[22:23], v21
	v_add_f64 v[18:19], v[18:19], -v[22:23]
	v_add_f64 v[22:23], v[26:27], v[18:19]
	v_cmp_le_f64_e32 vcc, 0.5, v[22:23]
	v_readfirstlane_b32 s14, v21
	s_cmp_lg_u64 vcc, 0
	s_addc_u32 s15, s14, 0
	v_add_f64 v[18:19], v[22:23], -v[18:19]
	s_and_b64 s[18:19], vcc, exec
	v_add_f64 v[18:19], v[26:27], -v[18:19]
	s_cselect_b32 s17, 0x3ff00000, 0
	v_add_f64 v[16:17], v[16:17], v[18:19]
	v_add_f64 v[18:19], v[22:23], -s[16:17]
	v_add_f64 v[22:23], v[18:19], v[16:17]
	s_mov_b32 s16, 0x54442d18
	v_add_f64 v[18:19], v[22:23], -v[18:19]
	s_mov_b32 s17, 0x3ff921fb
	v_add_f64 v[16:17], v[16:17], -v[18:19]
	v_mul_f64 v[18:19], v[22:23], s[16:17]
	s_mov_b32 s18, 0x33145c07
	v_fma_f64 v[24:25], v[22:23], s[16:17], -v[18:19]
	s_mov_b32 s19, 0x3c91a626
	v_fmac_f64_e32 v[24:25], s[18:19], v[22:23]
	v_fmac_f64_e32 v[24:25], s[16:17], v[16:17]
	v_add_f64 v[16:17], v[18:19], v[24:25]
	v_add_f64 v[18:19], v[16:17], -v[18:19]
	v_add_f64 v[18:19], v[24:25], -v[18:19]
	s_cbranch_execz .LBB2_8
	s_branch .LBB2_9
.LBB2_7:
                                        ; implicit-def: $sgpr15
                                        ; implicit-def: $vgpr16_vgpr17
                                        ; implicit-def: $vgpr18_vgpr19
.LBB2_8:
	v_mov_b32_e32 v16, 0x6dc9c883
	v_mov_b32_e32 v17, 0x3fe45f30
	v_mul_f64 v[16:17], |s[12:13]|, v[16:17]
	s_mov_b32 s2, 0x54442d18
	v_rndne_f64_e32 v[22:23], v[16:17]
	s_mov_b32 s3, 0xbff921fb
	v_mov_b64_e32 v[16:17], s[12:13]
	v_fma_f64 v[16:17], v[22:23], s[2:3], |v[16:17]|
	s_mov_b32 s3, 0xbc91a626
	s_mov_b32 s2, 0x33145c00
	v_mul_f64 v[24:25], v[22:23], s[2:3]
	v_add_f64 v[28:29], v[16:17], v[24:25]
	v_fma_f64 v[18:19], s[2:3], v[22:23], v[16:17]
	s_mov_b32 s3, 0x3c91a626
	v_add_f64 v[16:17], v[16:17], -v[28:29]
	v_fma_f64 v[26:27], s[2:3], v[22:23], v[24:25]
	v_add_f64 v[16:17], v[16:17], v[24:25]
	v_add_f64 v[24:25], v[28:29], -v[18:19]
	v_add_f64 v[16:17], v[24:25], v[16:17]
	s_mov_b32 s2, 0x252049c0
	v_add_f64 v[24:25], v[16:17], -v[26:27]
	s_mov_b32 s3, 0xb97b839a
	v_fmac_f64_e32 v[24:25], s[2:3], v[22:23]
	v_add_f64 v[16:17], v[18:19], v[24:25]
	v_add_f64 v[18:19], v[16:17], -v[18:19]
	v_cvt_i32_f64_e32 v21, v[22:23]
	v_add_f64 v[18:19], v[24:25], -v[18:19]
	v_readfirstlane_b32 s15, v21
.LBB2_9:
	s_mov_b32 s2, 0x9037ab78
	s_mov_b32 s3, 0x3e21eeb6
	;; [unrolled: 1-line block ×3, first 2 shown]
	v_mul_f64 v[22:23], v[10:11], v[10:11]
	s_mov_b32 s17, 0xbda907db
	v_mov_b64_e32 v[30:31], s[2:3]
	s_mov_b32 s18, 0xa17f65f6
	v_mul_f64 v[24:25], v[22:23], 0.5
	v_fma_f64 v[32:33], s[16:17], v[22:23], v[30:31]
	s_mov_b32 s19, 0xbe927e4f
	s_mov_b32 s20, 0x19f4ec90
	v_add_f64 v[26:27], -v[24:25], 1.0
	v_fma_f64 v[32:33], v[22:23], v[32:33], s[18:19]
	s_mov_b32 s21, 0x3efa01a0
	s_mov_b32 s22, 0x16c16967
	v_add_f64 v[28:29], -v[26:27], 1.0
	v_fma_f64 v[32:33], v[22:23], v[32:33], s[20:21]
	s_mov_b32 s23, 0xbf56c16c
	s_mov_b32 s24, 0x55555555
	v_add_f64 v[24:25], v[28:29], -v[24:25]
	v_fma_f64 v[32:33], v[22:23], v[32:33], s[22:23]
	s_mov_b32 s25, 0x3fa55555
	v_mul_f64 v[28:29], v[22:23], v[22:23]
	v_fma_f64 v[32:33], v[22:23], v[32:33], s[24:25]
	v_fma_f64 v[24:25], v[10:11], -v[12:13], v[24:25]
	s_mov_b32 s2, 0xb42fdfa7
	v_fmac_f64_e32 v[24:25], v[28:29], v[32:33]
	s_mov_b32 s3, 0xbe5ae600
	s_mov_b32 s26, 0xf9a43bb8
	v_add_f64 v[24:25], v[26:27], v[24:25]
	s_mov_b32 s27, 0x3de5e0b2
	v_mov_b64_e32 v[26:27], s[2:3]
	s_mov_b32 s28, 0x796cde01
	v_fma_f64 v[28:29], s[26:27], v[22:23], v[26:27]
	s_mov_b32 s29, 0x3ec71de3
	s_mov_b32 s30, 0x19e83e5c
	v_fma_f64 v[28:29], v[22:23], v[28:29], s[28:29]
	s_mov_b32 s31, 0xbf2a01a0
	s_mov_b32 s34, 0x11110bb3
	v_fma_f64 v[28:29], v[22:23], v[28:29], s[30:31]
	s_mov_b32 s35, 0x3f811111
	v_fma_f64 v[28:29], v[22:23], v[28:29], s[34:35]
	v_mul_f64 v[32:33], v[10:11], -v[22:23]
	v_mul_f64 v[34:35], v[12:13], 0.5
	v_fmac_f64_e32 v[34:35], v[32:33], v[28:29]
	v_fma_f64 v[12:13], v[22:23], v[34:35], -v[12:13]
	s_mov_b32 s37, 0xbfc55555
	s_mov_b32 s36, s24
	v_fmac_f64_e32 v[12:13], s[36:37], v[32:33]
	v_add_f64 v[10:11], v[10:11], -v[12:13]
	v_and_b32_e32 v12, 1, v20
	v_xor_b32_e32 v11, 0x80000000, v11
	v_cmp_eq_u32_e32 vcc, 0, v12
	v_lshlrev_b32_e32 v12, 30, v20
	v_and_b32_e32 v12, 0x80000000, v12
	v_cndmask_b32_e32 v11, v11, v25, vcc
	v_xor_b32_e32 v11, v11, v12
	v_mov_b32_e32 v12, 0x1f8
	v_cndmask_b32_e32 v10, v10, v24, vcc
	v_cmp_class_f64_e64 s[2:3], s[12:13], v12
	v_mov_b32_e32 v32, 0x7ff80000
	s_bitcmp0_b32 s15, 0
	v_cndmask_b32_e64 v12, 0, v10, s[2:3]
	v_cndmask_b32_e64 v13, v32, v11, s[2:3]
	s_waitcnt vmcnt(0) lgkmcnt(0)
	v_add_f64 v[10:11], v[14:15], -s[6:7]
	v_mul_f64 v[14:15], v[16:17], v[16:17]
	v_mul_f64 v[20:21], v[14:15], 0.5
	v_fmac_f64_e32 v[30:31], s[16:17], v[14:15]
	v_add_f64 v[22:23], -v[20:21], 1.0
	v_fma_f64 v[28:29], v[14:15], v[30:31], s[18:19]
	v_add_f64 v[24:25], -v[22:23], 1.0
	v_fma_f64 v[28:29], v[14:15], v[28:29], s[20:21]
	v_add_f64 v[20:21], v[24:25], -v[20:21]
	v_fma_f64 v[28:29], v[14:15], v[28:29], s[22:23]
	v_mul_f64 v[24:25], v[14:15], v[14:15]
	v_fma_f64 v[28:29], v[14:15], v[28:29], s[24:25]
	v_fma_f64 v[20:21], v[16:17], -v[18:19], v[20:21]
	v_fmac_f64_e32 v[20:21], v[24:25], v[28:29]
	v_fmac_f64_e32 v[26:27], s[26:27], v[14:15]
	v_add_f64 v[20:21], v[22:23], v[20:21]
	v_fma_f64 v[22:23], v[14:15], v[26:27], s[28:29]
	v_fma_f64 v[22:23], v[14:15], v[22:23], s[30:31]
	;; [unrolled: 1-line block ×3, first 2 shown]
	v_mul_f64 v[24:25], v[16:17], -v[14:15]
	v_mul_f64 v[26:27], v[18:19], 0.5
	v_fmac_f64_e32 v[26:27], v[24:25], v[22:23]
	v_fma_f64 v[14:15], v[14:15], v[26:27], -v[18:19]
	v_fmac_f64_e32 v[14:15], s[36:37], v[24:25]
	s_cselect_b64 vcc, -1, 0
	s_lshl_b32 s15, s15, 30
	v_add_f64 v[14:15], v[16:17], -v[14:15]
	s_xor_b32 s15, s15, s13
	v_cndmask_b32_e32 v15, v21, v15, vcc
	s_and_b32 s15, s15, 0x80000000
	v_cndmask_b32_e32 v14, v20, v14, vcc
	v_xor_b32_e32 v15, s15, v15
	v_cndmask_b32_e64 v14, 0, v14, s[2:3]
	v_cndmask_b32_e64 v15, v32, v15, s[2:3]
	v_add_f64 v[8:9], v[8:9], -s[4:5]
	v_mul_f64 v[14:15], v[10:11], v[14:15]
	v_fma_f64 v[12:13], v[8:9], v[12:13], -v[14:15]
	s_mov_b32 s14, 0
	v_add_f64 v[12:13], s[4:5], v[12:13]
	v_lshl_add_u64 v[14:15], v[0:1], 3, s[10:11]
	s_and_b64 vcc, exec, s[8:9]
	global_store_dwordx2 v[14:15], v[12:13], off
	s_cbranch_vccz .LBB2_11
; %bb.10:
	v_mov_b32_e32 v12, 0
	s_and_b32 s4, s13, 0x7fffffff
	v_mov_b32_e32 v13, 0x7b000000
	v_mov_b32_e32 v14, 0xffffff80
	v_ldexp_f64 v[14:15], |s[12:13]|, v14
	v_mov_b32_e32 v16, s4
	v_cmp_ge_f64_e64 vcc, |s[12:13]|, v[12:13]
	v_mov_b32_e32 v12, s12
	s_mov_b32 s4, 0
	v_cndmask_b32_e32 v13, v16, v15, vcc
	v_cndmask_b32_e32 v12, v12, v14, vcc
	v_mul_f64 v[16:17], v[6:7], v[12:13]
	v_mul_f64 v[14:15], v[4:5], v[12:13]
	v_fma_f64 v[18:19], v[6:7], v[12:13], -v[16:17]
	v_add_f64 v[20:21], v[14:15], v[18:19]
	v_add_f64 v[28:29], v[20:21], -v[14:15]
	v_add_f64 v[18:19], v[18:19], -v[28:29]
	;; [unrolled: 1-line block ×4, first 2 shown]
	v_add_f64 v[18:19], v[18:19], v[28:29]
	v_fma_f64 v[14:15], v[4:5], v[12:13], -v[14:15]
	v_mul_f64 v[28:29], v[2:3], v[12:13]
	v_add_f64 v[30:31], v[28:29], v[14:15]
	v_add_f64 v[22:23], v[16:17], v[20:21]
	;; [unrolled: 1-line block ×3, first 2 shown]
	v_ldexp_f64 v[24:25], v[22:23], -2
	v_add_f64 v[16:17], v[22:23], -v[16:17]
	v_add_f64 v[22:23], v[32:33], -v[30:31]
	;; [unrolled: 1-line block ×5, first 2 shown]
	v_add_f64 v[18:19], v[18:19], v[22:23]
	v_add_f64 v[22:23], v[30:31], -v[28:29]
	v_add_f64 v[14:15], v[14:15], -v[22:23]
	v_add_f64 v[22:23], v[30:31], -v[22:23]
	v_add_f64 v[22:23], v[28:29], -v[22:23]
	v_add_f64 v[16:17], v[20:21], -v[16:17]
	v_add_f64 v[14:15], v[14:15], v[22:23]
	v_fract_f64_e32 v[26:27], v[24:25]
	v_add_f64 v[20:21], v[16:17], v[32:33]
	v_add_f64 v[14:15], v[14:15], v[18:19]
	v_fma_f64 v[12:13], v[2:3], v[12:13], -v[28:29]
	s_mov_b32 s5, 0x7ff00000
	v_add_f64 v[16:17], v[20:21], -v[16:17]
	v_add_f64 v[12:13], v[12:13], v[14:15]
	v_ldexp_f64 v[14:15], v[26:27], 2
	v_cmp_neq_f64_e64 vcc, |v[24:25]|, s[4:5]
	v_add_f64 v[16:17], v[32:33], -v[16:17]
	v_add_f64 v[12:13], v[16:17], v[12:13]
	v_cndmask_b32_e32 v15, 0, v15, vcc
	v_cndmask_b32_e32 v14, 0, v14, vcc
	v_add_f64 v[16:17], v[20:21], v[14:15]
	v_cmp_gt_f64_e32 vcc, 0, v[16:17]
	s_and_b64 s[10:11], vcc, exec
	s_cselect_b32 s15, 0x40100000, 0
	v_add_f64 v[14:15], v[14:15], s[14:15]
	v_add_f64 v[16:17], v[20:21], v[14:15]
	v_cvt_i32_f64_e32 v18, v[16:17]
	v_cvt_f64_i32_e32 v[16:17], v18
	v_add_f64 v[14:15], v[14:15], -v[16:17]
	v_add_f64 v[16:17], v[20:21], v[14:15]
	v_cmp_le_f64_e32 vcc, 0.5, v[16:17]
	v_readfirstlane_b32 s10, v18
	s_cmp_lg_u64 vcc, 0
	s_addc_u32 s10, s10, 0
	v_add_f64 v[14:15], v[16:17], -v[14:15]
	s_and_b64 s[16:17], vcc, exec
	v_add_f64 v[14:15], v[20:21], -v[14:15]
	s_cselect_b32 s15, 0x3ff00000, 0
	v_add_f64 v[12:13], v[12:13], v[14:15]
	v_add_f64 v[14:15], v[16:17], -s[14:15]
	v_add_f64 v[16:17], v[14:15], v[12:13]
	s_mov_b32 s14, 0x54442d18
	v_add_f64 v[14:15], v[16:17], -v[14:15]
	s_mov_b32 s15, 0x3ff921fb
	v_add_f64 v[12:13], v[12:13], -v[14:15]
	v_mul_f64 v[14:15], v[16:17], s[14:15]
	s_mov_b32 s16, 0x33145c07
	v_fma_f64 v[18:19], v[16:17], s[14:15], -v[14:15]
	s_mov_b32 s17, 0x3c91a626
	v_fmac_f64_e32 v[18:19], s[16:17], v[16:17]
	v_fmac_f64_e32 v[18:19], s[14:15], v[12:13]
	v_add_f64 v[12:13], v[14:15], v[18:19]
	v_add_f64 v[14:15], v[12:13], -v[14:15]
	v_add_f64 v[14:15], v[18:19], -v[14:15]
	s_cbranch_execz .LBB2_12
	s_branch .LBB2_13
.LBB2_11:
                                        ; implicit-def: $sgpr10
                                        ; implicit-def: $vgpr12_vgpr13
                                        ; implicit-def: $vgpr14_vgpr15
.LBB2_12:
	v_mov_b32_e32 v12, 0x6dc9c883
	v_mov_b32_e32 v13, 0x3fe45f30
	v_mul_f64 v[12:13], |s[12:13]|, v[12:13]
	s_mov_b32 s4, 0x54442d18
	v_rndne_f64_e32 v[16:17], v[12:13]
	s_mov_b32 s5, 0xbff921fb
	v_mov_b64_e32 v[12:13], s[12:13]
	v_fma_f64 v[12:13], v[16:17], s[4:5], |v[12:13]|
	s_mov_b32 s5, 0xbc91a626
	s_mov_b32 s4, 0x33145c00
	v_mul_f64 v[18:19], v[16:17], s[4:5]
	v_add_f64 v[22:23], v[12:13], v[18:19]
	v_fma_f64 v[14:15], s[4:5], v[16:17], v[12:13]
	s_mov_b32 s5, 0x3c91a626
	v_add_f64 v[12:13], v[12:13], -v[22:23]
	v_fma_f64 v[20:21], s[4:5], v[16:17], v[18:19]
	v_add_f64 v[12:13], v[12:13], v[18:19]
	v_add_f64 v[18:19], v[22:23], -v[14:15]
	v_add_f64 v[12:13], v[18:19], v[12:13]
	s_mov_b32 s4, 0x252049c0
	v_add_f64 v[18:19], v[12:13], -v[20:21]
	s_mov_b32 s5, 0xb97b839a
	v_fmac_f64_e32 v[18:19], s[4:5], v[16:17]
	v_add_f64 v[12:13], v[14:15], v[18:19]
	v_add_f64 v[14:15], v[12:13], -v[14:15]
	v_cvt_i32_f64_e32 v16, v[16:17]
	v_add_f64 v[14:15], v[18:19], -v[14:15]
	v_readfirstlane_b32 s10, v16
.LBB2_13:
	s_load_dwordx2 s[4:5], s[0:1], 0x8
	s_and_b64 vcc, exec, s[8:9]
	s_cbranch_vccz .LBB2_15
; %bb.14:
	v_mov_b32_e32 v16, 0
	s_and_b32 s0, s13, 0x7fffffff
	v_mov_b32_e32 v17, 0x7b000000
	v_mov_b32_e32 v18, 0xffffff80
	v_ldexp_f64 v[18:19], |s[12:13]|, v18
	v_mov_b32_e32 v20, s0
	v_cmp_ge_f64_e64 vcc, |s[12:13]|, v[16:17]
	v_mov_b32_e32 v16, s12
	s_mov_b32 s0, 0
	v_cndmask_b32_e32 v17, v20, v19, vcc
	v_cndmask_b32_e32 v16, v16, v18, vcc
	v_mul_f64 v[20:21], v[6:7], v[16:17]
	v_mul_f64 v[18:19], v[4:5], v[16:17]
	v_fma_f64 v[6:7], v[6:7], v[16:17], -v[20:21]
	v_add_f64 v[22:23], v[18:19], v[6:7]
	v_add_f64 v[30:31], v[22:23], -v[18:19]
	v_add_f64 v[6:7], v[6:7], -v[30:31]
	;; [unrolled: 1-line block ×4, first 2 shown]
	v_fma_f64 v[4:5], v[4:5], v[16:17], -v[18:19]
	v_mul_f64 v[18:19], v[2:3], v[16:17]
	v_add_f64 v[6:7], v[6:7], v[30:31]
	v_add_f64 v[30:31], v[18:19], v[4:5]
	;; [unrolled: 1-line block ×4, first 2 shown]
	v_ldexp_f64 v[26:27], v[24:25], -2
	v_add_f64 v[20:21], v[24:25], -v[20:21]
	v_add_f64 v[24:25], v[32:33], -v[30:31]
	;; [unrolled: 1-line block ×5, first 2 shown]
	v_add_f64 v[6:7], v[6:7], v[24:25]
	v_add_f64 v[24:25], v[30:31], -v[18:19]
	v_add_f64 v[4:5], v[4:5], -v[24:25]
	v_add_f64 v[24:25], v[30:31], -v[24:25]
	v_add_f64 v[24:25], v[18:19], -v[24:25]
	v_add_f64 v[4:5], v[4:5], v[24:25]
	v_fract_f64_e32 v[28:29], v[26:27]
	v_add_f64 v[4:5], v[4:5], v[6:7]
	v_fma_f64 v[2:3], v[2:3], v[16:17], -v[18:19]
	s_mov_b32 s1, 0x7ff00000
	v_add_f64 v[20:21], v[22:23], -v[20:21]
	v_add_f64 v[2:3], v[2:3], v[4:5]
	v_ldexp_f64 v[4:5], v[28:29], 2
	v_cmp_neq_f64_e64 vcc, |v[26:27]|, s[0:1]
	v_add_f64 v[22:23], v[20:21], v[32:33]
	s_mov_b32 s14, 0
	v_cndmask_b32_e32 v5, 0, v5, vcc
	v_cndmask_b32_e32 v4, 0, v4, vcc
	v_add_f64 v[6:7], v[22:23], v[4:5]
	v_cmp_gt_f64_e32 vcc, 0, v[6:7]
	s_and_b64 s[0:1], vcc, exec
	s_cselect_b32 s15, 0x40100000, 0
	v_add_f64 v[4:5], v[4:5], s[14:15]
	v_add_f64 v[6:7], v[22:23], v[4:5]
	v_cvt_i32_f64_e32 v18, v[6:7]
	v_cvt_f64_i32_e32 v[6:7], v18
	v_add_f64 v[4:5], v[4:5], -v[6:7]
	v_add_f64 v[16:17], v[22:23], v[4:5]
	v_add_f64 v[20:21], v[22:23], -v[20:21]
	v_cmp_le_f64_e32 vcc, 0.5, v[16:17]
	v_add_f64 v[20:21], v[32:33], -v[20:21]
	v_add_f64 v[4:5], v[16:17], -v[4:5]
	s_and_b64 s[0:1], vcc, exec
	v_add_f64 v[2:3], v[20:21], v[2:3]
	v_add_f64 v[4:5], v[22:23], -v[4:5]
	s_cselect_b32 s15, 0x3ff00000, 0
	v_add_f64 v[2:3], v[2:3], v[4:5]
	v_addc_co_u32_e64 v6, s[0:1], 0, v18, vcc
	v_add_f64 v[4:5], v[16:17], -s[14:15]
	v_add_f64 v[16:17], v[4:5], v[2:3]
	s_mov_b32 s0, 0x54442d18
	v_add_f64 v[4:5], v[16:17], -v[4:5]
	s_mov_b32 s1, 0x3ff921fb
	v_add_f64 v[2:3], v[2:3], -v[4:5]
	v_mul_f64 v[4:5], v[16:17], s[0:1]
	s_mov_b32 s14, 0x33145c07
	v_fma_f64 v[18:19], v[16:17], s[0:1], -v[4:5]
	s_mov_b32 s15, 0x3c91a626
	v_fmac_f64_e32 v[18:19], s[14:15], v[16:17]
	v_fmac_f64_e32 v[18:19], s[0:1], v[2:3]
	v_add_f64 v[2:3], v[4:5], v[18:19]
	v_add_f64 v[4:5], v[2:3], -v[4:5]
	v_add_f64 v[4:5], v[18:19], -v[4:5]
	s_cbranch_execz .LBB2_16
	s_branch .LBB2_17
.LBB2_15:
                                        ; implicit-def: $vgpr6
                                        ; implicit-def: $vgpr2_vgpr3
                                        ; implicit-def: $vgpr4_vgpr5
.LBB2_16:
	v_mov_b32_e32 v2, 0x6dc9c883
	v_mov_b32_e32 v3, 0x3fe45f30
	v_mul_f64 v[2:3], |s[12:13]|, v[2:3]
	s_mov_b32 s0, 0x54442d18
	v_rndne_f64_e32 v[6:7], v[2:3]
	s_mov_b32 s1, 0xbff921fb
	v_mov_b64_e32 v[2:3], s[12:13]
	v_fma_f64 v[2:3], v[6:7], s[0:1], |v[2:3]|
	s_mov_b32 s1, 0xbc91a626
	s_mov_b32 s0, 0x33145c00
	v_mul_f64 v[16:17], v[6:7], s[0:1]
	v_add_f64 v[20:21], v[2:3], v[16:17]
	v_fma_f64 v[4:5], s[0:1], v[6:7], v[2:3]
	s_mov_b32 s1, 0x3c91a626
	v_add_f64 v[2:3], v[2:3], -v[20:21]
	v_fma_f64 v[18:19], s[0:1], v[6:7], v[16:17]
	v_add_f64 v[2:3], v[2:3], v[16:17]
	v_add_f64 v[16:17], v[20:21], -v[4:5]
	v_add_f64 v[2:3], v[16:17], v[2:3]
	s_mov_b32 s0, 0x252049c0
	v_add_f64 v[16:17], v[2:3], -v[18:19]
	s_mov_b32 s1, 0xb97b839a
	v_fmac_f64_e32 v[16:17], s[0:1], v[6:7]
	v_add_f64 v[2:3], v[4:5], v[16:17]
	v_add_f64 v[4:5], v[2:3], -v[4:5]
	v_add_f64 v[4:5], v[16:17], -v[4:5]
	v_cvt_i32_f64_e32 v6, v[6:7]
.LBB2_17:
	s_mov_b32 s0, 0x9037ab78
	s_mov_b32 s1, 0x3e21eeb6
	;; [unrolled: 1-line block ×3, first 2 shown]
	v_mul_f64 v[16:17], v[12:13], v[12:13]
	s_mov_b32 s9, 0xbda907db
	v_mov_b64_e32 v[24:25], s[0:1]
	s_mov_b32 s0, 0xa17f65f6
	v_mul_f64 v[18:19], v[16:17], 0.5
	v_fma_f64 v[26:27], s[8:9], v[16:17], v[24:25]
	s_mov_b32 s1, 0xbe927e4f
	s_mov_b32 s14, 0x19f4ec90
	v_add_f64 v[20:21], -v[18:19], 1.0
	v_fma_f64 v[26:27], v[16:17], v[26:27], s[0:1]
	s_mov_b32 s15, 0x3efa01a0
	s_mov_b32 s16, 0x16c16967
	v_add_f64 v[22:23], -v[20:21], 1.0
	v_fma_f64 v[26:27], v[16:17], v[26:27], s[14:15]
	s_mov_b32 s17, 0xbf56c16c
	s_mov_b32 s18, 0x55555555
	v_add_f64 v[18:19], v[22:23], -v[18:19]
	v_fma_f64 v[26:27], v[16:17], v[26:27], s[16:17]
	s_mov_b32 s19, 0x3fa55555
	v_mul_f64 v[22:23], v[16:17], v[16:17]
	v_fma_f64 v[26:27], v[16:17], v[26:27], s[18:19]
	v_fma_f64 v[18:19], v[12:13], -v[14:15], v[18:19]
	s_mov_b32 s20, 0xb42fdfa7
	v_fmac_f64_e32 v[18:19], v[22:23], v[26:27]
	s_mov_b32 s21, 0xbe5ae600
	s_mov_b32 s22, 0xf9a43bb8
	v_add_f64 v[18:19], v[20:21], v[18:19]
	s_mov_b32 s23, 0x3de5e0b2
	v_mov_b64_e32 v[20:21], s[20:21]
	s_mov_b32 s20, 0x796cde01
	v_fma_f64 v[22:23], s[22:23], v[16:17], v[20:21]
	s_mov_b32 s21, 0x3ec71de3
	s_mov_b32 s24, 0x19e83e5c
	v_fma_f64 v[22:23], v[16:17], v[22:23], s[20:21]
	s_mov_b32 s25, 0xbf2a01a0
	;; [unrolled: 3-line block ×3, first 2 shown]
	v_fma_f64 v[22:23], v[16:17], v[22:23], s[26:27]
	v_mul_f64 v[26:27], v[12:13], -v[16:17]
	v_mul_f64 v[28:29], v[14:15], 0.5
	v_fmac_f64_e32 v[28:29], v[26:27], v[22:23]
	v_fma_f64 v[14:15], v[16:17], v[28:29], -v[14:15]
	s_mov_b32 s29, 0xbfc55555
	s_mov_b32 s28, s18
	v_fmac_f64_e32 v[14:15], s[28:29], v[26:27]
	v_add_f64 v[12:13], v[12:13], -v[14:15]
	s_bitcmp0_b32 s10, 0
	v_mul_f64 v[14:15], v[2:3], v[2:3]
	s_cselect_b64 vcc, -1, 0
	v_mul_f64 v[16:17], v[14:15], 0.5
	v_fmac_f64_e32 v[24:25], s[8:9], v[14:15]
	v_cndmask_b32_e32 v7, v18, v12, vcc
	v_cndmask_b32_e32 v12, v19, v13, vcc
	v_add_f64 v[18:19], -v[16:17], 1.0
	v_fma_f64 v[24:25], v[14:15], v[24:25], s[0:1]
	v_add_f64 v[22:23], -v[18:19], 1.0
	v_fma_f64 v[24:25], v[14:15], v[24:25], s[14:15]
	v_add_f64 v[16:17], v[22:23], -v[16:17]
	v_fma_f64 v[24:25], v[14:15], v[24:25], s[16:17]
	v_mul_f64 v[22:23], v[14:15], v[14:15]
	v_fma_f64 v[24:25], v[14:15], v[24:25], s[18:19]
	v_fma_f64 v[16:17], v[2:3], -v[4:5], v[16:17]
	v_fmac_f64_e32 v[16:17], v[22:23], v[24:25]
	v_fmac_f64_e32 v[20:21], s[22:23], v[14:15]
	v_add_f64 v[16:17], v[18:19], v[16:17]
	v_fma_f64 v[18:19], v[14:15], v[20:21], s[20:21]
	v_fma_f64 v[18:19], v[14:15], v[18:19], s[24:25]
	v_fma_f64 v[18:19], v[14:15], v[18:19], s[26:27]
	v_mul_f64 v[20:21], v[2:3], -v[14:15]
	v_mul_f64 v[22:23], v[4:5], 0.5
	v_fmac_f64_e32 v[22:23], v[20:21], v[18:19]
	v_fma_f64 v[4:5], v[14:15], v[22:23], -v[4:5]
	v_fmac_f64_e32 v[4:5], s[28:29], v[20:21]
	s_lshl_b32 s10, s10, 30
	v_add_f64 v[2:3], v[2:3], -v[4:5]
	v_and_b32_e32 v4, 1, v6
	s_xor_b32 s10, s10, s13
	v_xor_b32_e32 v3, 0x80000000, v3
	v_cmp_eq_u32_e32 vcc, 0, v4
	v_lshlrev_b32_e32 v4, 30, v6
	s_and_b32 s10, s10, 0x80000000
	v_cndmask_b32_e32 v3, v3, v17, vcc
	v_and_b32_e32 v4, 0x80000000, v4
	v_xor_b32_e32 v13, s10, v12
	v_cndmask_b32_e64 v12, 0, v7, s[2:3]
	v_mov_b32_e32 v7, 0x7ff80000
	v_cndmask_b32_e32 v2, v2, v16, vcc
	v_xor_b32_e32 v3, v3, v4
	v_cndmask_b32_e64 v2, 0, v2, s[2:3]
	v_cndmask_b32_e64 v3, v7, v3, s[2:3]
	;; [unrolled: 1-line block ×3, first 2 shown]
	v_mul_f64 v[2:3], v[10:11], v[2:3]
	v_fmac_f64_e32 v[2:3], v[8:9], v[12:13]
	v_add_f64 v[2:3], s[6:7], v[2:3]
	s_waitcnt lgkmcnt(0)
	v_lshl_add_u64 v[0:1], v[0:1], 3, s[4:5]
	global_store_dwordx2 v[0:1], v[2:3], off
.LBB2_18:
	s_endpgm
	.section	.rodata,"a",@progbits
	.p2align	6, 0x0
	.amdhsa_kernel _Z19rot_detector_kernelPdS_PKdS1_dddi
		.amdhsa_group_segment_fixed_size 0
		.amdhsa_private_segment_fixed_size 0
		.amdhsa_kernarg_size 320
		.amdhsa_user_sgpr_count 2
		.amdhsa_user_sgpr_dispatch_ptr 0
		.amdhsa_user_sgpr_queue_ptr 0
		.amdhsa_user_sgpr_kernarg_segment_ptr 1
		.amdhsa_user_sgpr_dispatch_id 0
		.amdhsa_user_sgpr_kernarg_preload_length 0
		.amdhsa_user_sgpr_kernarg_preload_offset 0
		.amdhsa_user_sgpr_private_segment_size 0
		.amdhsa_uses_dynamic_stack 0
		.amdhsa_enable_private_segment 0
		.amdhsa_system_sgpr_workgroup_id_x 1
		.amdhsa_system_sgpr_workgroup_id_y 0
		.amdhsa_system_sgpr_workgroup_id_z 0
		.amdhsa_system_sgpr_workgroup_info 0
		.amdhsa_system_vgpr_workitem_id 0
		.amdhsa_next_free_vgpr 40
		.amdhsa_next_free_sgpr 38
		.amdhsa_accum_offset 40
		.amdhsa_reserve_vcc 1
		.amdhsa_float_round_mode_32 0
		.amdhsa_float_round_mode_16_64 0
		.amdhsa_float_denorm_mode_32 3
		.amdhsa_float_denorm_mode_16_64 3
		.amdhsa_dx10_clamp 1
		.amdhsa_ieee_mode 1
		.amdhsa_fp16_overflow 0
		.amdhsa_tg_split 0
		.amdhsa_exception_fp_ieee_invalid_op 0
		.amdhsa_exception_fp_denorm_src 0
		.amdhsa_exception_fp_ieee_div_zero 0
		.amdhsa_exception_fp_ieee_overflow 0
		.amdhsa_exception_fp_ieee_underflow 0
		.amdhsa_exception_fp_ieee_inexact 0
		.amdhsa_exception_int_div_zero 0
	.end_amdhsa_kernel
	.text
.Lfunc_end2:
	.size	_Z19rot_detector_kernelPdS_PKdS1_dddi, .Lfunc_end2-_Z19rot_detector_kernelPdS_PKdS1_dddi
                                        ; -- End function
	.set _Z19rot_detector_kernelPdS_PKdS1_dddi.num_vgpr, 40
	.set _Z19rot_detector_kernelPdS_PKdS1_dddi.num_agpr, 0
	.set _Z19rot_detector_kernelPdS_PKdS1_dddi.numbered_sgpr, 38
	.set _Z19rot_detector_kernelPdS_PKdS1_dddi.num_named_barrier, 0
	.set _Z19rot_detector_kernelPdS_PKdS1_dddi.private_seg_size, 0
	.set _Z19rot_detector_kernelPdS_PKdS1_dddi.uses_vcc, 1
	.set _Z19rot_detector_kernelPdS_PKdS1_dddi.uses_flat_scratch, 0
	.set _Z19rot_detector_kernelPdS_PKdS1_dddi.has_dyn_sized_stack, 0
	.set _Z19rot_detector_kernelPdS_PKdS1_dddi.has_recursion, 0
	.set _Z19rot_detector_kernelPdS_PKdS1_dddi.has_indirect_call, 0
	.section	.AMDGPU.csdata,"",@progbits
; Kernel info:
; codeLenInByte = 4908
; TotalNumSgprs: 44
; NumVgprs: 40
; NumAgprs: 0
; TotalNumVgprs: 40
; ScratchSize: 0
; MemoryBound: 0
; FloatMode: 240
; IeeeMode: 1
; LDSByteSize: 0 bytes/workgroup (compile time only)
; SGPRBlocks: 5
; VGPRBlocks: 4
; NumSGPRsForWavesPerEU: 44
; NumVGPRsForWavesPerEU: 40
; AccumOffset: 40
; Occupancy: 8
; WaveLimiterHint : 0
; COMPUTE_PGM_RSRC2:SCRATCH_EN: 0
; COMPUTE_PGM_RSRC2:USER_SGPR: 2
; COMPUTE_PGM_RSRC2:TRAP_HANDLER: 0
; COMPUTE_PGM_RSRC2:TGID_X_EN: 1
; COMPUTE_PGM_RSRC2:TGID_Y_EN: 0
; COMPUTE_PGM_RSRC2:TGID_Z_EN: 0
; COMPUTE_PGM_RSRC2:TIDIG_COMP_CNT: 0
; COMPUTE_PGM_RSRC3_GFX90A:ACCUM_OFFSET: 9
; COMPUTE_PGM_RSRC3_GFX90A:TG_SPLIT: 0
	.text
	.protected	_Z19mapDet2Slice_kernelPdS_dddPKdS1_S1_S1_iii ; -- Begin function _Z19mapDet2Slice_kernelPdS_dddPKdS1_S1_S1_iii
	.globl	_Z19mapDet2Slice_kernelPdS_dddPKdS1_S1_S1_iii
	.p2align	8
	.type	_Z19mapDet2Slice_kernelPdS_dddPKdS1_S1_S1_iii,@function
_Z19mapDet2Slice_kernelPdS_dddPKdS1_S1_S1_iii: ; @_Z19mapDet2Slice_kernelPdS_dddPKdS1_S1_S1_iii
; %bb.0:
	s_load_dword s4, s[0:1], 0x64
	s_load_dwordx4 s[12:15], s[0:1], 0x48
	v_and_b32_e32 v1, 0x3ff, v0
	v_bfe_u32 v0, v0, 10, 10
	s_waitcnt lgkmcnt(0)
	s_lshr_b32 s5, s4, 16
	s_and_b32 s4, s4, 0xffff
	s_mul_i32 s2, s2, s4
	s_mul_i32 s3, s3, s5
	v_add_u32_e32 v2, s2, v1
	v_add_u32_e32 v0, s3, v0
	v_cmp_gt_i32_e32 vcc, s13, v2
	v_cmp_gt_i32_e64 s[2:3], s12, v0
	s_and_b64 s[2:3], vcc, s[2:3]
	s_and_saveexec_b64 s[4:5], s[2:3]
	s_cbranch_execz .LBB3_3
; %bb.1:
	s_load_dwordx8 s[4:11], s[0:1], 0x10
	s_load_dwordx4 s[16:19], s[0:1], 0x38
	v_ashrrev_i32_e32 v1, 31, v0
	v_mad_u64_u32 v[10:11], s[2:3], v0, s13, v[2:3]
	s_waitcnt lgkmcnt(0)
	v_lshl_add_u64 v[4:5], v[0:1], 3, s[10:11]
	v_ashrrev_i32_e32 v3, 31, v2
	global_load_dwordx2 v[12:13], v[4:5], off
	v_lshl_add_u64 v[4:5], v[2:3], 3, s[16:17]
	global_load_dwordx2 v[4:5], v[4:5], off
	s_ashr_i32 s15, s14, 31
	s_lshl_b64 s[2:3], s[14:15], 3
	s_add_u32 s2, s18, s2
	s_addc_u32 s3, s19, s3
	s_load_dwordx2 s[10:11], s[2:3], 0x0
	s_load_dwordx2 s[12:13], s[0:1], 0x0
	v_ashrrev_i32_e32 v11, 31, v10
	s_waitcnt lgkmcnt(0)
	v_lshl_add_u64 v[10:11], v[10:11], 3, s[12:13]
	s_waitcnt vmcnt(1)
	v_add_f64 v[14:15], v[12:13], -s[4:5]
	v_mul_f64 v[16:17], s[8:9], v[12:13]
	s_waitcnt vmcnt(0)
	v_add_f64 v[8:9], s[10:11], -v[4:5]
	v_fma_f64 v[14:15], v[14:15], v[8:9], -v[16:17]
	v_add_f64 v[6:7], v[4:5], -s[8:9]
	v_fmac_f64_e32 v[14:15], v[12:13], v[4:5]
	v_div_scale_f64 v[12:13], s[2:3], v[6:7], v[6:7], v[14:15]
	v_rcp_f64_e32 v[16:17], v[12:13]
	v_div_scale_f64 v[18:19], vcc, v[14:15], v[6:7], v[14:15]
	v_fma_f64 v[20:21], -v[12:13], v[16:17], 1.0
	v_fmac_f64_e32 v[16:17], v[16:17], v[20:21]
	v_fma_f64 v[20:21], -v[12:13], v[16:17], 1.0
	v_fmac_f64_e32 v[16:17], v[16:17], v[20:21]
	v_mul_f64 v[20:21], v[18:19], v[16:17]
	v_fma_f64 v[12:13], -v[12:13], v[20:21], v[18:19]
	v_div_fmas_f64 v[12:13], v[12:13], v[16:17], v[20:21]
	v_div_fixup_f64 v[12:13], v[12:13], v[6:7], v[14:15]
	v_cmp_eq_u32_e32 vcc, 0, v0
	global_store_dwordx2 v[10:11], v[12:13], off
	s_and_b64 exec, exec, vcc
	s_cbranch_execz .LBB3_3
; %bb.2:
	s_load_dwordx2 s[2:3], s[0:1], 0x30
	v_lshlrev_b64 v[0:1], 3, v[2:3]
	s_load_dwordx2 s[0:1], s[0:1], 0x8
	s_waitcnt lgkmcnt(0)
	v_lshl_add_u64 v[2:3], s[2:3], 0, v[0:1]
	global_load_dwordx2 v[2:3], v[2:3], off
	v_lshl_add_u64 v[0:1], s[0:1], 0, v[0:1]
	s_waitcnt vmcnt(0)
	v_add_f64 v[10:11], v[2:3], -s[6:7]
	v_mul_f64 v[12:13], s[8:9], v[2:3]
	v_fma_f64 v[8:9], v[8:9], v[10:11], -v[12:13]
	v_fmac_f64_e32 v[8:9], v[4:5], v[2:3]
	v_div_scale_f64 v[2:3], s[2:3], v[6:7], v[6:7], v[8:9]
	v_rcp_f64_e32 v[4:5], v[2:3]
	v_div_scale_f64 v[10:11], vcc, v[8:9], v[6:7], v[8:9]
	v_fma_f64 v[12:13], -v[2:3], v[4:5], 1.0
	v_fmac_f64_e32 v[4:5], v[4:5], v[12:13]
	v_fma_f64 v[12:13], -v[2:3], v[4:5], 1.0
	v_fmac_f64_e32 v[4:5], v[4:5], v[12:13]
	v_mul_f64 v[12:13], v[10:11], v[4:5]
	v_fma_f64 v[2:3], -v[2:3], v[12:13], v[10:11]
	v_div_fmas_f64 v[2:3], v[2:3], v[4:5], v[12:13]
	v_div_fixup_f64 v[2:3], v[2:3], v[6:7], v[8:9]
	global_store_dwordx2 v[0:1], v[2:3], off
.LBB3_3:
	s_endpgm
	.section	.rodata,"a",@progbits
	.p2align	6, 0x0
	.amdhsa_kernel _Z19mapDet2Slice_kernelPdS_dddPKdS1_S1_S1_iii
		.amdhsa_group_segment_fixed_size 0
		.amdhsa_private_segment_fixed_size 0
		.amdhsa_kernarg_size 344
		.amdhsa_user_sgpr_count 2
		.amdhsa_user_sgpr_dispatch_ptr 0
		.amdhsa_user_sgpr_queue_ptr 0
		.amdhsa_user_sgpr_kernarg_segment_ptr 1
		.amdhsa_user_sgpr_dispatch_id 0
		.amdhsa_user_sgpr_kernarg_preload_length 0
		.amdhsa_user_sgpr_kernarg_preload_offset 0
		.amdhsa_user_sgpr_private_segment_size 0
		.amdhsa_uses_dynamic_stack 0
		.amdhsa_enable_private_segment 0
		.amdhsa_system_sgpr_workgroup_id_x 1
		.amdhsa_system_sgpr_workgroup_id_y 1
		.amdhsa_system_sgpr_workgroup_id_z 0
		.amdhsa_system_sgpr_workgroup_info 0
		.amdhsa_system_vgpr_workitem_id 1
		.amdhsa_next_free_vgpr 22
		.amdhsa_next_free_sgpr 20
		.amdhsa_accum_offset 24
		.amdhsa_reserve_vcc 1
		.amdhsa_float_round_mode_32 0
		.amdhsa_float_round_mode_16_64 0
		.amdhsa_float_denorm_mode_32 3
		.amdhsa_float_denorm_mode_16_64 3
		.amdhsa_dx10_clamp 1
		.amdhsa_ieee_mode 1
		.amdhsa_fp16_overflow 0
		.amdhsa_tg_split 0
		.amdhsa_exception_fp_ieee_invalid_op 0
		.amdhsa_exception_fp_denorm_src 0
		.amdhsa_exception_fp_ieee_div_zero 0
		.amdhsa_exception_fp_ieee_overflow 0
		.amdhsa_exception_fp_ieee_underflow 0
		.amdhsa_exception_fp_ieee_inexact 0
		.amdhsa_exception_int_div_zero 0
	.end_amdhsa_kernel
	.text
.Lfunc_end3:
	.size	_Z19mapDet2Slice_kernelPdS_dddPKdS1_S1_S1_iii, .Lfunc_end3-_Z19mapDet2Slice_kernelPdS_dddPKdS1_S1_S1_iii
                                        ; -- End function
	.set _Z19mapDet2Slice_kernelPdS_dddPKdS1_S1_S1_iii.num_vgpr, 22
	.set _Z19mapDet2Slice_kernelPdS_dddPKdS1_S1_S1_iii.num_agpr, 0
	.set _Z19mapDet2Slice_kernelPdS_dddPKdS1_S1_S1_iii.numbered_sgpr, 20
	.set _Z19mapDet2Slice_kernelPdS_dddPKdS1_S1_S1_iii.num_named_barrier, 0
	.set _Z19mapDet2Slice_kernelPdS_dddPKdS1_S1_S1_iii.private_seg_size, 0
	.set _Z19mapDet2Slice_kernelPdS_dddPKdS1_S1_S1_iii.uses_vcc, 1
	.set _Z19mapDet2Slice_kernelPdS_dddPKdS1_S1_S1_iii.uses_flat_scratch, 0
	.set _Z19mapDet2Slice_kernelPdS_dddPKdS1_S1_S1_iii.has_dyn_sized_stack, 0
	.set _Z19mapDet2Slice_kernelPdS_dddPKdS1_S1_S1_iii.has_recursion, 0
	.set _Z19mapDet2Slice_kernelPdS_dddPKdS1_S1_S1_iii.has_indirect_call, 0
	.section	.AMDGPU.csdata,"",@progbits
; Kernel info:
; codeLenInByte = 524
; TotalNumSgprs: 26
; NumVgprs: 22
; NumAgprs: 0
; TotalNumVgprs: 22
; ScratchSize: 0
; MemoryBound: 0
; FloatMode: 240
; IeeeMode: 1
; LDSByteSize: 0 bytes/workgroup (compile time only)
; SGPRBlocks: 3
; VGPRBlocks: 2
; NumSGPRsForWavesPerEU: 26
; NumVGPRsForWavesPerEU: 22
; AccumOffset: 24
; Occupancy: 8
; WaveLimiterHint : 0
; COMPUTE_PGM_RSRC2:SCRATCH_EN: 0
; COMPUTE_PGM_RSRC2:USER_SGPR: 2
; COMPUTE_PGM_RSRC2:TRAP_HANDLER: 0
; COMPUTE_PGM_RSRC2:TGID_X_EN: 1
; COMPUTE_PGM_RSRC2:TGID_Y_EN: 1
; COMPUTE_PGM_RSRC2:TGID_Z_EN: 0
; COMPUTE_PGM_RSRC2:TIDIG_COMP_CNT: 1
; COMPUTE_PGM_RSRC3_GFX90A:ACCUM_OFFSET: 5
; COMPUTE_PGM_RSRC3_GFX90A:TG_SPLIT: 0
	.text
	.protected	_Z22img_integration_kernelPdiibiii ; -- Begin function _Z22img_integration_kernelPdiibiii
	.globl	_Z22img_integration_kernelPdiibiii
	.p2align	8
	.type	_Z22img_integration_kernelPdiibiii,@function
_Z22img_integration_kernelPdiibiii:     ; @_Z22img_integration_kernelPdiibiii
; %bb.0:
	s_load_dwordx2 s[12:13], s[0:1], 0x2c
	s_load_dwordx4 s[8:11], s[0:1], 0x8
	s_load_dwordx2 s[6:7], s[0:1], 0x18
	v_and_b32_e32 v1, 0x3ff, v0
	s_waitcnt lgkmcnt(0)
	s_lshr_b32 s5, s12, 16
	s_and_b32 s12, s12, 0xffff
	s_mul_i32 s2, s2, s12
	v_add_u32_e32 v6, s2, v1
	s_mul_i32 s3, s3, s5
	v_bfe_u32 v1, v0, 10, 10
	s_and_b32 s13, s13, 0xffff
	v_add_u32_e32 v5, s3, v1
	v_add_u32_e32 v4, s11, v6
	;; [unrolled: 1-line block ×3, first 2 shown]
	s_mul_i32 s4, s4, s13
	v_bfe_u32 v0, v0, 20, 10
	v_add_u32_e32 v3, s4, v0
	v_cmp_gt_i32_e32 vcc, s9, v4
	v_cmp_gt_i32_e64 s[2:3], s8, v2
	s_and_b64 s[2:3], vcc, s[2:3]
	v_cmp_gt_i32_e32 vcc, s7, v3
	s_and_b64 s[2:3], vcc, s[2:3]
	s_and_saveexec_b64 s[14:15], s[2:3]
	s_cbranch_execz .LBB4_14
; %bb.1:
	s_load_dwordx2 s[0:1], s[0:1], 0x0
	s_bitcmp1_b32 s10, 0
	s_cselect_b64 s[14:15], -1, 0
	s_mov_b64 s[2:3], -1
	s_and_b64 vcc, exec, s[14:15]
	s_cbranch_vccnz .LBB4_8
; %bb.2:
	s_cmp_eq_u32 s12, 0
	s_cbranch_scc1 .LBB4_7
; %bb.3:
	v_mad_u64_u32 v[0:1], s[2:3], v3, s8, v[2:3]
	v_mul_lo_u32 v0, v0, s9
	v_add_u32_e32 v7, s11, v0
	v_add_u32_e32 v0, v0, v4
	v_ashrrev_i32_e32 v1, 31, v0
	s_waitcnt lgkmcnt(0)
	v_lshl_add_u64 v[0:1], v[0:1], 3, s[0:1]
	s_mov_b32 s4, 1
	s_branch .LBB4_5
.LBB4_4:                                ;   in Loop: Header=BB4_5 Depth=1
	s_or_b64 exec, exec, s[2:3]
	s_lshl_b32 s4, s4, 1
	s_cmp_le_u32 s4, s12
	s_cbranch_scc0 .LBB4_7
.LBB4_5:                                ; =>This Inner Loop Header: Depth=1
	v_subrev_u32_e32 v8, s4, v6
	v_cmp_lt_i32_e32 vcc, -1, v8
	s_and_saveexec_b64 s[2:3], vcc
	s_cbranch_execz .LBB4_4
; %bb.6:                                ;   in Loop: Header=BB4_5 Depth=1
	v_add_u32_e32 v8, v7, v8
	v_ashrrev_i32_e32 v9, 31, v8
	v_lshl_add_u64 v[8:9], v[8:9], 3, s[0:1]
	global_load_dwordx2 v[10:11], v[8:9], off
	global_load_dwordx2 v[12:13], v[0:1], off
	s_waitcnt vmcnt(0)
	v_add_f64 v[8:9], v[10:11], v[12:13]
	global_store_dwordx2 v[0:1], v[8:9], off
	s_branch .LBB4_4
.LBB4_7:
	s_mov_b64 s[2:3], 0
.LBB4_8:
	s_andn2_b64 vcc, exec, s[2:3]
	s_cbranch_vccnz .LBB4_14
; %bb.9:
	s_cmp_eq_u32 s5, 0
	s_cbranch_scc1 .LBB4_14
; %bb.10:
	v_mul_lo_u32 v0, s9, v3
	v_mad_u64_u32 v[0:1], s[2:3], v0, s8, v[4:5]
	v_mad_u64_u32 v[2:3], s[2:3], v2, s9, v[0:1]
	v_ashrrev_i32_e32 v3, 31, v2
	s_waitcnt lgkmcnt(0)
	v_lshl_add_u64 v[2:3], v[2:3], 3, s[0:1]
	s_mov_b32 s4, 1
	s_branch .LBB4_12
.LBB4_11:                               ;   in Loop: Header=BB4_12 Depth=1
	s_or_b64 exec, exec, s[2:3]
	s_lshl_b32 s4, s4, 1
	s_cmp_gt_u32 s4, s5
	s_cbranch_scc1 .LBB4_14
.LBB4_12:                               ; =>This Inner Loop Header: Depth=1
	v_subrev_u32_e32 v1, s4, v5
	v_cmp_lt_i32_e32 vcc, -1, v1
	s_and_saveexec_b64 s[2:3], vcc
	s_cbranch_execz .LBB4_11
; %bb.13:                               ;   in Loop: Header=BB4_12 Depth=1
	v_add_u32_e32 v1, s6, v1
	v_mad_u64_u32 v[6:7], s[10:11], v1, s9, v[0:1]
	v_ashrrev_i32_e32 v7, 31, v6
	v_lshl_add_u64 v[6:7], v[6:7], 3, s[0:1]
	global_load_dwordx2 v[8:9], v[6:7], off
	global_load_dwordx2 v[10:11], v[2:3], off
	s_waitcnt vmcnt(0)
	v_add_f64 v[6:7], v[8:9], v[10:11]
	global_store_dwordx2 v[2:3], v[6:7], off
	s_branch .LBB4_11
.LBB4_14:
	s_endpgm
	.section	.rodata,"a",@progbits
	.p2align	6, 0x0
	.amdhsa_kernel _Z22img_integration_kernelPdiibiii
		.amdhsa_group_segment_fixed_size 0
		.amdhsa_private_segment_fixed_size 0
		.amdhsa_kernarg_size 288
		.amdhsa_user_sgpr_count 2
		.amdhsa_user_sgpr_dispatch_ptr 0
		.amdhsa_user_sgpr_queue_ptr 0
		.amdhsa_user_sgpr_kernarg_segment_ptr 1
		.amdhsa_user_sgpr_dispatch_id 0
		.amdhsa_user_sgpr_kernarg_preload_length 0
		.amdhsa_user_sgpr_kernarg_preload_offset 0
		.amdhsa_user_sgpr_private_segment_size 0
		.amdhsa_uses_dynamic_stack 0
		.amdhsa_enable_private_segment 0
		.amdhsa_system_sgpr_workgroup_id_x 1
		.amdhsa_system_sgpr_workgroup_id_y 1
		.amdhsa_system_sgpr_workgroup_id_z 1
		.amdhsa_system_sgpr_workgroup_info 0
		.amdhsa_system_vgpr_workitem_id 2
		.amdhsa_next_free_vgpr 14
		.amdhsa_next_free_sgpr 16
		.amdhsa_accum_offset 16
		.amdhsa_reserve_vcc 1
		.amdhsa_float_round_mode_32 0
		.amdhsa_float_round_mode_16_64 0
		.amdhsa_float_denorm_mode_32 3
		.amdhsa_float_denorm_mode_16_64 3
		.amdhsa_dx10_clamp 1
		.amdhsa_ieee_mode 1
		.amdhsa_fp16_overflow 0
		.amdhsa_tg_split 0
		.amdhsa_exception_fp_ieee_invalid_op 0
		.amdhsa_exception_fp_denorm_src 0
		.amdhsa_exception_fp_ieee_div_zero 0
		.amdhsa_exception_fp_ieee_overflow 0
		.amdhsa_exception_fp_ieee_underflow 0
		.amdhsa_exception_fp_ieee_inexact 0
		.amdhsa_exception_int_div_zero 0
	.end_amdhsa_kernel
	.text
.Lfunc_end4:
	.size	_Z22img_integration_kernelPdiibiii, .Lfunc_end4-_Z22img_integration_kernelPdiibiii
                                        ; -- End function
	.set _Z22img_integration_kernelPdiibiii.num_vgpr, 14
	.set _Z22img_integration_kernelPdiibiii.num_agpr, 0
	.set _Z22img_integration_kernelPdiibiii.numbered_sgpr, 16
	.set _Z22img_integration_kernelPdiibiii.num_named_barrier, 0
	.set _Z22img_integration_kernelPdiibiii.private_seg_size, 0
	.set _Z22img_integration_kernelPdiibiii.uses_vcc, 1
	.set _Z22img_integration_kernelPdiibiii.uses_flat_scratch, 0
	.set _Z22img_integration_kernelPdiibiii.has_dyn_sized_stack, 0
	.set _Z22img_integration_kernelPdiibiii.has_recursion, 0
	.set _Z22img_integration_kernelPdiibiii.has_indirect_call, 0
	.section	.AMDGPU.csdata,"",@progbits
; Kernel info:
; codeLenInByte = 476
; TotalNumSgprs: 22
; NumVgprs: 14
; NumAgprs: 0
; TotalNumVgprs: 14
; ScratchSize: 0
; MemoryBound: 0
; FloatMode: 240
; IeeeMode: 1
; LDSByteSize: 0 bytes/workgroup (compile time only)
; SGPRBlocks: 2
; VGPRBlocks: 1
; NumSGPRsForWavesPerEU: 22
; NumVGPRsForWavesPerEU: 14
; AccumOffset: 16
; Occupancy: 8
; WaveLimiterHint : 0
; COMPUTE_PGM_RSRC2:SCRATCH_EN: 0
; COMPUTE_PGM_RSRC2:USER_SGPR: 2
; COMPUTE_PGM_RSRC2:TRAP_HANDLER: 0
; COMPUTE_PGM_RSRC2:TGID_X_EN: 1
; COMPUTE_PGM_RSRC2:TGID_Y_EN: 1
; COMPUTE_PGM_RSRC2:TGID_Z_EN: 1
; COMPUTE_PGM_RSRC2:TIDIG_COMP_CNT: 2
; COMPUTE_PGM_RSRC3_GFX90A:ACCUM_OFFSET: 3
; COMPUTE_PGM_RSRC3_GFX90A:TG_SPLIT: 0
	.text
	.protected	_Z29bilinear_interpolation_kernelPdPKdS1_S1_S1_S1_iiiiiii ; -- Begin function _Z29bilinear_interpolation_kernelPdPKdS1_S1_S1_S1_iiiiiii
	.globl	_Z29bilinear_interpolation_kernelPdPKdS1_S1_S1_S1_iiiiiii
	.p2align	8
	.type	_Z29bilinear_interpolation_kernelPdPKdS1_S1_S1_S1_iiiiiii,@function
_Z29bilinear_interpolation_kernelPdPKdS1_S1_S1_S1_iiiiiii: ; @_Z29bilinear_interpolation_kernelPdPKdS1_S1_S1_S1_iiiiiii
; %bb.0:
	s_load_dword s4, s[0:1], 0x5c
	s_load_dwordx4 s[16:19], s[0:1], 0x30
	v_and_b32_e32 v1, 0x3ff, v0
	v_bfe_u32 v0, v0, 10, 10
	s_waitcnt lgkmcnt(0)
	s_lshr_b32 s5, s4, 16
	s_and_b32 s4, s4, 0xffff
	s_mul_i32 s2, s2, s4
	s_mul_i32 s3, s3, s5
	v_add_u32_e32 v2, s2, v1
	v_add_u32_e32 v0, s3, v0
	v_cmp_gt_i32_e32 vcc, s17, v2
	v_cmp_gt_i32_e64 s[2:3], s16, v0
	s_and_b64 s[2:3], vcc, s[2:3]
	s_and_saveexec_b64 s[4:5], s[2:3]
	s_cbranch_execz .LBB5_14
; %bb.1:
	s_load_dwordx8 s[8:15], s[0:1], 0x8
	v_ashrrev_i32_e32 v1, 31, v0
	v_ashrrev_i32_e32 v3, 31, v2
	s_waitcnt lgkmcnt(0)
	v_lshl_add_u64 v[4:5], v[0:1], 3, s[10:11]
	global_load_dwordx2 v[6:7], v[4:5], off
	v_lshl_add_u64 v[4:5], v[2:3], 3, s[12:13]
	global_load_dwordx2 v[8:9], v[4:5], off
	s_load_dwordx2 s[2:3], s[0:1], 0x28
	s_load_dwordx4 s[20:23], s[0:1], 0x40
	s_load_dwordx2 s[6:7], s[14:15], 0x0
	v_mov_b64_e32 v[4:5], 0
	s_waitcnt lgkmcnt(0)
	s_load_dwordx2 s[2:3], s[2:3], 0x0
	v_cvt_f64_i32_e32 v[12:13], s20
	v_mov_b64_e32 v[20:21], s[6:7]
	v_cvt_f64_i32_e32 v[16:17], s21
	s_mul_i32 s12, s22, s18
	s_waitcnt lgkmcnt(0)
	v_mov_b64_e32 v[10:11], s[2:3]
	v_div_scale_f64 v[14:15], s[4:5], s[6:7], s[6:7], v[10:11]
	v_rcp_f64_e32 v[18:19], v[14:15]
	v_div_scale_f64 v[20:21], s[2:3], s[2:3], v[20:21], s[2:3]
	v_fma_f64 v[22:23], -v[14:15], v[18:19], 1.0
	v_fmac_f64_e32 v[18:19], v[18:19], v[22:23]
	v_fma_f64 v[22:23], -v[14:15], v[18:19], 1.0
	v_fmac_f64_e32 v[18:19], v[18:19], v[22:23]
	v_mul_f64 v[22:23], v[20:21], v[18:19]
	v_fma_f64 v[14:15], -v[14:15], v[22:23], v[20:21]
	s_waitcnt vmcnt(1)
	v_div_scale_f64 v[20:21], s[4:5], s[6:7], s[6:7], v[6:7]
	s_waitcnt vmcnt(0)
	v_div_scale_f64 v[26:27], s[4:5], s[6:7], s[6:7], v[8:9]
	v_rcp_f64_e32 v[28:29], v[20:21]
	v_rcp_f64_e32 v[30:31], v[26:27]
	v_div_scale_f64 v[24:25], vcc, v[6:7], s[6:7], v[6:7]
	v_fma_f64 v[34:35], -v[20:21], v[28:29], 1.0
	v_fma_f64 v[36:37], -v[26:27], v[30:31], 1.0
	v_fmac_f64_e32 v[28:29], v[28:29], v[34:35]
	v_fmac_f64_e32 v[30:31], v[30:31], v[36:37]
	v_fma_f64 v[34:35], -v[20:21], v[28:29], 1.0
	v_fma_f64 v[36:37], -v[26:27], v[30:31], 1.0
	v_fmac_f64_e32 v[28:29], v[28:29], v[34:35]
	v_div_scale_f64 v[32:33], s[4:5], v[8:9], s[6:7], v[8:9]
	v_fmac_f64_e32 v[30:31], v[30:31], v[36:37]
	v_mul_f64 v[34:35], v[24:25], v[28:29]
	v_mul_f64 v[36:37], v[32:33], v[30:31]
	v_fma_f64 v[20:21], -v[20:21], v[34:35], v[24:25]
	v_fma_f64 v[24:25], -v[26:27], v[36:37], v[32:33]
	v_div_fmas_f64 v[20:21], v[20:21], v[28:29], v[34:35]
	s_mov_b64 vcc, s[4:5]
	v_div_fixup_f64 v[6:7], v[20:21], s[6:7], v[6:7]
	v_div_fmas_f64 v[20:21], v[24:25], v[30:31], v[36:37]
	s_mov_b64 vcc, s[2:3]
	v_div_fmas_f64 v[14:15], v[14:15], v[18:19], v[22:23]
	v_div_fixup_f64 v[8:9], v[20:21], s[6:7], v[8:9]
	v_div_fixup_f64 v[10:11], v[14:15], s[6:7], v[10:11]
	v_add_f64 v[6:7], v[12:13], -v[6:7]
	v_add_f64 v[8:9], v[8:9], -v[10:11]
	v_floor_f64_e32 v[18:19], v[6:7]
	v_floor_f64_e32 v[10:11], v[8:9]
	v_cmp_le_f64_e32 vcc, 0, v[6:7]
	v_cvt_i32_f64_e32 v1, v[18:19]
	v_cvt_i32_f64_e32 v10, v[10:11]
	v_mov_b64_e32 v[14:15], 0
	s_and_saveexec_b64 s[10:11], vcc
	s_cbranch_execz .LBB5_5
; %bb.2:
	v_cmp_le_f64_e64 s[2:3], v[6:7], v[12:13]
	v_cmp_le_f64_e64 s[6:7], v[8:9], v[16:17]
	v_cmp_le_f64_e64 s[4:5], 0, v[8:9]
	s_and_b64 s[2:3], s[2:3], s[6:7]
	v_mov_b64_e32 v[14:15], 0
	s_and_b64 s[4:5], s[2:3], s[4:5]
	s_and_saveexec_b64 s[2:3], s[4:5]
	s_cbranch_execz .LBB5_4
; %bb.3:
	v_add_u32_e32 v3, s12, v1
	v_mad_u64_u32 v[14:15], s[4:5], v3, s19, v[10:11]
	v_ashrrev_i32_e32 v15, 31, v14
	v_lshl_add_u64 v[14:15], v[14:15], 3, s[8:9]
	global_load_dwordx2 v[14:15], v[14:15], off
.LBB5_4:
	s_or_b64 exec, exec, s[2:3]
.LBB5_5:
	s_or_b64 exec, exec, s[10:11]
	v_add_u32_e32 v3, 1, v1
	v_cmp_lt_i32_e64 s[2:3], -1, v1
	s_and_saveexec_b64 s[10:11], s[2:3]
	s_cbranch_execz .LBB5_9
; %bb.6:
	v_cmp_gt_i32_e64 s[4:5], s20, v1
	v_cmp_le_f64_e64 s[6:7], 0, v[8:9]
	s_and_b64 s[6:7], s[4:5], s[6:7]
	v_cmp_le_f64_e64 s[4:5], v[8:9], v[16:17]
	v_mov_b64_e32 v[4:5], 0
	s_and_b64 s[6:7], s[4:5], s[6:7]
	s_and_saveexec_b64 s[4:5], s[6:7]
	s_cbranch_execz .LBB5_8
; %bb.7:
	v_add_u32_e32 v4, s12, v3
	v_mad_u64_u32 v[4:5], s[6:7], v4, s19, v[10:11]
	v_ashrrev_i32_e32 v5, 31, v4
	v_lshl_add_u64 v[4:5], v[4:5], 3, s[8:9]
	global_load_dwordx2 v[4:5], v[4:5], off
.LBB5_8:
	s_or_b64 exec, exec, s[4:5]
.LBB5_9:
	s_or_b64 exec, exec, s[10:11]
	s_load_dwordx2 s[4:5], s[0:1], 0x0
	v_cmp_le_f64_e64 s[0:1], v[6:7], v[12:13]
	s_and_b64 s[6:7], vcc, s[0:1]
	v_cmp_lt_i32_e32 vcc, -1, v10
	v_cmp_gt_i32_e64 s[0:1], s21, v10
	s_and_b64 s[0:1], vcc, s[0:1]
	s_and_b64 s[10:11], s[6:7], s[0:1]
	v_mov_b64_e32 v[12:13], 0
	v_mov_b64_e32 v[16:17], 0
	s_and_saveexec_b64 s[6:7], s[10:11]
	s_cbranch_execz .LBB5_11
; %bb.10:
	v_add_u32_e32 v11, s12, v1
	v_mul_lo_u32 v11, v11, s19
	v_add3_u32 v16, v10, v11, 1
	v_ashrrev_i32_e32 v17, 31, v16
	v_lshl_add_u64 v[16:17], v[16:17], 3, s[8:9]
	global_load_dwordx2 v[16:17], v[16:17], off
.LBB5_11:
	s_or_b64 exec, exec, s[6:7]
	v_cmp_gt_i32_e32 vcc, s20, v1
	s_and_b64 s[2:3], s[2:3], vcc
	s_and_b64 s[2:3], s[2:3], s[0:1]
	s_and_saveexec_b64 s[0:1], s[2:3]
	s_cbranch_execz .LBB5_13
; %bb.12:
	v_add_u32_e32 v3, s12, v3
	v_mul_lo_u32 v3, v3, s19
	v_add3_u32 v12, v10, v3, 1
	v_ashrrev_i32_e32 v13, 31, v12
	v_lshl_add_u64 v[12:13], v[12:13], 3, s[8:9]
	global_load_dwordx2 v[12:13], v[12:13], off
.LBB5_13:
	s_or_b64 exec, exec, s[0:1]
	v_cvt_f64_i32_e32 v[18:19], v1
	v_add_f64 v[6:7], v[6:7], -v[18:19]
	v_cvt_f64_i32_e32 v[10:11], v10
	v_add_f64 v[8:9], v[8:9], -v[10:11]
	s_waitcnt vmcnt(0)
	v_fma_f64 v[10:11], -v[6:7], v[14:15], v[14:15]
	v_fmac_f64_e32 v[10:11], v[6:7], v[4:5]
	v_fma_f64 v[4:5], -v[6:7], v[16:17], v[16:17]
	v_mad_u64_u32 v[0:1], s[0:1], v0, s17, v[2:3]
	v_fmac_f64_e32 v[4:5], v[6:7], v[12:13]
	v_fma_f64 v[6:7], -v[8:9], v[10:11], v[10:11]
	v_ashrrev_i32_e32 v1, 31, v0
	v_fmac_f64_e32 v[6:7], v[8:9], v[4:5]
	s_waitcnt lgkmcnt(0)
	v_lshl_add_u64 v[0:1], v[0:1], 3, s[4:5]
	global_store_dwordx2 v[0:1], v[6:7], off
.LBB5_14:
	s_endpgm
	.section	.rodata,"a",@progbits
	.p2align	6, 0x0
	.amdhsa_kernel _Z29bilinear_interpolation_kernelPdPKdS1_S1_S1_S1_iiiiiii
		.amdhsa_group_segment_fixed_size 0
		.amdhsa_private_segment_fixed_size 0
		.amdhsa_kernarg_size 336
		.amdhsa_user_sgpr_count 2
		.amdhsa_user_sgpr_dispatch_ptr 0
		.amdhsa_user_sgpr_queue_ptr 0
		.amdhsa_user_sgpr_kernarg_segment_ptr 1
		.amdhsa_user_sgpr_dispatch_id 0
		.amdhsa_user_sgpr_kernarg_preload_length 0
		.amdhsa_user_sgpr_kernarg_preload_offset 0
		.amdhsa_user_sgpr_private_segment_size 0
		.amdhsa_uses_dynamic_stack 0
		.amdhsa_enable_private_segment 0
		.amdhsa_system_sgpr_workgroup_id_x 1
		.amdhsa_system_sgpr_workgroup_id_y 1
		.amdhsa_system_sgpr_workgroup_id_z 0
		.amdhsa_system_sgpr_workgroup_info 0
		.amdhsa_system_vgpr_workitem_id 1
		.amdhsa_next_free_vgpr 38
		.amdhsa_next_free_sgpr 24
		.amdhsa_accum_offset 40
		.amdhsa_reserve_vcc 1
		.amdhsa_float_round_mode_32 0
		.amdhsa_float_round_mode_16_64 0
		.amdhsa_float_denorm_mode_32 3
		.amdhsa_float_denorm_mode_16_64 3
		.amdhsa_dx10_clamp 1
		.amdhsa_ieee_mode 1
		.amdhsa_fp16_overflow 0
		.amdhsa_tg_split 0
		.amdhsa_exception_fp_ieee_invalid_op 0
		.amdhsa_exception_fp_denorm_src 0
		.amdhsa_exception_fp_ieee_div_zero 0
		.amdhsa_exception_fp_ieee_overflow 0
		.amdhsa_exception_fp_ieee_underflow 0
		.amdhsa_exception_fp_ieee_inexact 0
		.amdhsa_exception_int_div_zero 0
	.end_amdhsa_kernel
	.text
.Lfunc_end5:
	.size	_Z29bilinear_interpolation_kernelPdPKdS1_S1_S1_S1_iiiiiii, .Lfunc_end5-_Z29bilinear_interpolation_kernelPdPKdS1_S1_S1_S1_iiiiiii
                                        ; -- End function
	.set _Z29bilinear_interpolation_kernelPdPKdS1_S1_S1_S1_iiiiiii.num_vgpr, 38
	.set _Z29bilinear_interpolation_kernelPdPKdS1_S1_S1_S1_iiiiiii.num_agpr, 0
	.set _Z29bilinear_interpolation_kernelPdPKdS1_S1_S1_S1_iiiiiii.numbered_sgpr, 24
	.set _Z29bilinear_interpolation_kernelPdPKdS1_S1_S1_S1_iiiiiii.num_named_barrier, 0
	.set _Z29bilinear_interpolation_kernelPdPKdS1_S1_S1_S1_iiiiiii.private_seg_size, 0
	.set _Z29bilinear_interpolation_kernelPdPKdS1_S1_S1_S1_iiiiiii.uses_vcc, 1
	.set _Z29bilinear_interpolation_kernelPdPKdS1_S1_S1_S1_iiiiiii.uses_flat_scratch, 0
	.set _Z29bilinear_interpolation_kernelPdPKdS1_S1_S1_S1_iiiiiii.has_dyn_sized_stack, 0
	.set _Z29bilinear_interpolation_kernelPdPKdS1_S1_S1_S1_iiiiiii.has_recursion, 0
	.set _Z29bilinear_interpolation_kernelPdPKdS1_S1_S1_S1_iiiiiii.has_indirect_call, 0
	.section	.AMDGPU.csdata,"",@progbits
; Kernel info:
; codeLenInByte = 948
; TotalNumSgprs: 30
; NumVgprs: 38
; NumAgprs: 0
; TotalNumVgprs: 38
; ScratchSize: 0
; MemoryBound: 0
; FloatMode: 240
; IeeeMode: 1
; LDSByteSize: 0 bytes/workgroup (compile time only)
; SGPRBlocks: 3
; VGPRBlocks: 4
; NumSGPRsForWavesPerEU: 30
; NumVGPRsForWavesPerEU: 38
; AccumOffset: 40
; Occupancy: 8
; WaveLimiterHint : 0
; COMPUTE_PGM_RSRC2:SCRATCH_EN: 0
; COMPUTE_PGM_RSRC2:USER_SGPR: 2
; COMPUTE_PGM_RSRC2:TRAP_HANDLER: 0
; COMPUTE_PGM_RSRC2:TGID_X_EN: 1
; COMPUTE_PGM_RSRC2:TGID_Y_EN: 1
; COMPUTE_PGM_RSRC2:TGID_Z_EN: 0
; COMPUTE_PGM_RSRC2:TIDIG_COMP_CNT: 1
; COMPUTE_PGM_RSRC3_GFX90A:ACCUM_OFFSET: 9
; COMPUTE_PGM_RSRC3_GFX90A:TG_SPLIT: 0
	.text
	.protected	_Z22differentiation_kernelPdPKddddS1_S1_S1_iiiidddddi ; -- Begin function _Z22differentiation_kernelPdPKddddS1_S1_S1_iiiidddddi
	.globl	_Z22differentiation_kernelPdPKddddS1_S1_S1_iiiidddddi
	.p2align	8
	.type	_Z22differentiation_kernelPdPKddddS1_S1_S1_iiiidddddi,@function
_Z22differentiation_kernelPdPKddddS1_S1_S1_iiiidddddi: ; @_Z22differentiation_kernelPdPKddddS1_S1_S1_iiiidddddi
; %bb.0:
	s_load_dword s4, s[0:1], 0x8c
	s_load_dwordx2 s[24:25], s[0:1], 0x40
	v_and_b32_e32 v1, 0x3ff, v0
	v_bfe_u32 v0, v0, 10, 10
	s_waitcnt lgkmcnt(0)
	s_lshr_b32 s5, s4, 16
	s_and_b32 s4, s4, 0xffff
	s_mul_i32 s2, s2, s4
	s_mul_i32 s3, s3, s5
	v_add_u32_e32 v8, s2, v1
	v_add_u32_e32 v10, s3, v0
	v_cmp_gt_i32_e32 vcc, s25, v8
	v_cmp_gt_i32_e64 s[2:3], s24, v10
	s_and_b64 s[2:3], vcc, s[2:3]
	s_and_saveexec_b64 s[4:5], s[2:3]
	s_cbranch_execz .LBB6_10
; %bb.1:
	s_load_dword s30, s[0:1], 0x4c
	s_load_dwordx4 s[20:23], s[0:1], 0x30
	v_ashrrev_i32_e32 v11, 31, v10
	v_mov_b32_e32 v14, 0xbd3237f4
	v_mov_b32_e32 v15, 0xbf23e260
	s_waitcnt lgkmcnt(0)
	v_mad_u64_u32 v[0:1], s[2:3], v10, s30, v[8:9]
	v_ashrrev_i32_e32 v9, 31, v8
	v_lshl_add_u64 v[2:3], v[8:9], 3, s[20:21]
	global_load_dwordx2 v[12:13], v[2:3], off
	s_load_dwordx2 s[28:29], s[0:1], 0x8
	s_load_dwordx8 s[12:19], s[0:1], 0x10
	s_load_dwordx8 s[4:11], s[0:1], 0x50
	s_load_dwordx2 s[20:21], s[0:1], 0x70
	s_load_dword s26, s[0:1], 0x78
	v_add_u32_e32 v4, s30, v0
	s_waitcnt lgkmcnt(0)
	v_lshl_add_u64 v[2:3], v[10:11], 3, s[18:19]
	v_ashrrev_i32_e32 v1, 31, v0
	v_lshl_add_u64 v[20:21], v[0:1], 3, s[28:29]
	s_ashr_i32 s27, s26, 31
	s_lshl_b64 s[18:19], s[26:27], 3
	s_add_u32 s18, s22, s18
	v_ashrrev_i32_e32 v5, 31, v4
	s_addc_u32 s19, s23, s19
	global_load_dwordx2 v[18:19], v[2:3], off
	v_lshl_add_u64 v[46:47], v[4:5], 3, s[28:29]
	s_load_dwordx2 s[18:19], s[18:19], 0x0
	global_load_dwordx4 v[0:3], v[20:21], off
	global_load_dwordx4 v[4:7], v[46:47], off
	s_mov_b32 s2, 0xb5e68a13
	s_mov_b32 s3, 0x3eeba404
	v_mov_b32_e32 v16, 0x69efb384
	s_waitcnt lgkmcnt(0)
	v_mov_b64_e32 v[20:21], s[18:19]
	v_add_f64 v[20:21], s[16:17], -v[20:21]
	v_mov_b32_e32 v17, 0x3f4b2bb0
	v_mov_b32_e32 v22, 0xaf56de9b
	;; [unrolled: 1-line block ×29, first 2 shown]
                                        ; implicit-def: $vgpr9
	s_waitcnt vmcnt(3)
	v_fmac_f64_e64 v[12:13], s[10:11], 0.5
	v_add_f64 v[12:13], v[12:13], -s[14:15]
	v_div_scale_f64 v[48:49], s[14:15], v[20:21], v[20:21], v[12:13]
	v_rcp_f64_e32 v[50:51], v[48:49]
	v_div_scale_f64 v[54:55], vcc, v[12:13], v[20:21], v[12:13]
	v_fma_f64 v[56:57], -v[48:49], v[50:51], 1.0
	v_fmac_f64_e32 v[50:51], v[50:51], v[56:57]
	v_fma_f64 v[56:57], -v[48:49], v[50:51], 1.0
	v_fmac_f64_e32 v[50:51], v[50:51], v[56:57]
	v_mul_f64 v[56:57], v[54:55], v[50:51]
	v_fma_f64 v[48:49], -v[48:49], v[56:57], v[54:55]
	v_div_fmas_f64 v[48:49], v[48:49], v[50:51], v[56:57]
	v_div_fixup_f64 v[12:13], v[48:49], v[20:21], v[12:13]
	v_and_b32_e32 v49, 0x7fffffff, v13
	v_mov_b32_e32 v48, v12
	v_div_scale_f64 v[50:51], s[14:15], v[48:49], v[48:49], 1.0
	v_rcp_f64_e32 v[54:55], v[50:51]
	v_div_scale_f64 v[56:57], vcc, 1.0, v[48:49], 1.0
	s_mov_b32 s14, 0x336a0500
	v_fma_f64 v[58:59], -v[50:51], v[54:55], 1.0
	v_fmac_f64_e32 v[54:55], v[54:55], v[58:59]
	v_fma_f64 v[58:59], -v[50:51], v[54:55], 1.0
	v_fmac_f64_e32 v[54:55], v[54:55], v[58:59]
	v_mul_f64 v[58:59], v[56:57], v[54:55]
	v_fma_f64 v[50:51], -v[50:51], v[58:59], v[56:57]
	v_div_fmas_f64 v[50:51], v[50:51], v[54:55], v[58:59]
	v_div_fixup_f64 v[50:51], v[50:51], |v[12:13]|, 1.0
	v_cmp_gt_f64_e64 vcc, |v[12:13]|, 1.0
	v_mov_b32_e32 v56, 0x92376b7d
	v_mov_b32_e32 v57, 0xbfc24924
	v_cndmask_b32_e32 v13, v49, v51, vcc
	v_cndmask_b32_e32 v12, v12, v50, vcc
	v_mul_f64 v[50:51], v[12:13], v[12:13]
	v_fmac_f64_e32 v[14:15], s[2:3], v[50:51]
	v_fmac_f64_e32 v[16:17], v[50:51], v[14:15]
	;; [unrolled: 1-line block ×16, first 2 shown]
	v_mov_b32_e32 v54, 0x999952cc
	v_mov_b32_e32 v55, 0x3fc99999
	v_fmac_f64_e32 v[56:57], v[50:51], v[52:53]
	v_mov_b32_e32 v58, 0x55555523
	v_mov_b32_e32 v59, 0xbfd55555
	v_fmac_f64_e32 v[54:55], v[50:51], v[56:57]
	v_fmac_f64_e32 v[58:59], v[50:51], v[54:55]
	v_mul_f64 v[14:15], v[50:51], v[58:59]
	v_mov_b32_e32 v48, 0xeeb562d6
	v_mov_b32_e32 v49, 0x3ffaf154
	s_mov_b32 s15, 0x3fedd9ad
	v_fmac_f64_e32 v[12:13], v[12:13], v[14:15]
	v_fma_f64 v[14:15], s[14:15], v[48:49], -v[12:13]
	s_mov_b32 s2, 0
	v_cndmask_b32_e32 v13, v13, v15, vcc
	v_cndmask_b32_e32 v12, v12, v14, vcc
	s_mov_b32 s3, 0x41d00000
	v_cmp_nlt_f64_e64 s[2:3], |v[12:13]|, s[2:3]
                                        ; implicit-def: $vgpr14_vgpr15
                                        ; implicit-def: $vgpr16_vgpr17
	s_and_saveexec_b64 s[14:15], s[2:3]
	s_xor_b64 s[14:15], exec, s[14:15]
	s_cbranch_execz .LBB6_3
; %bb.2:
	s_mov_b32 s2, 0
	s_mov_b32 s3, 0x7b000000
	s_movk_i32 s16, 0xff80
	v_and_b32_e32 v9, 0x7fffffff, v13
	v_ldexp_f64 v[22:23], |v[12:13]|, s16
	v_cmp_ge_f64_e64 vcc, |v[12:13]|, s[2:3]
	v_trig_preop_f64 v[14:15], |v[12:13]|, 0
	v_trig_preop_f64 v[16:17], |v[12:13]|, 1
	v_cndmask_b32_e32 v23, v9, v23, vcc
	v_cndmask_b32_e32 v22, v12, v22, vcc
	v_mul_f64 v[26:27], v[14:15], v[22:23]
	v_mul_f64 v[24:25], v[16:17], v[22:23]
	v_fma_f64 v[14:15], v[14:15], v[22:23], -v[26:27]
	v_add_f64 v[28:29], v[24:25], v[14:15]
	v_add_f64 v[36:37], v[28:29], -v[24:25]
	v_add_f64 v[14:15], v[14:15], -v[36:37]
	;; [unrolled: 1-line block ×4, first 2 shown]
	v_fma_f64 v[16:17], v[16:17], v[22:23], -v[24:25]
	v_trig_preop_f64 v[24:25], |v[12:13]|, 2
	v_add_f64 v[14:15], v[14:15], v[36:37]
	v_mul_f64 v[36:37], v[24:25], v[22:23]
	v_add_f64 v[38:39], v[36:37], v[16:17]
	v_add_f64 v[30:31], v[26:27], v[28:29]
	;; [unrolled: 1-line block ×3, first 2 shown]
	v_ldexp_f64 v[32:33], v[30:31], -2
	v_add_f64 v[26:27], v[30:31], -v[26:27]
	v_add_f64 v[30:31], v[40:41], -v[38:39]
	;; [unrolled: 1-line block ×5, first 2 shown]
	v_add_f64 v[14:15], v[14:15], v[30:31]
	v_add_f64 v[30:31], v[38:39], -v[36:37]
	v_add_f64 v[16:17], v[16:17], -v[30:31]
	;; [unrolled: 1-line block ×4, first 2 shown]
	v_add_f64 v[16:17], v[16:17], v[30:31]
	s_mov_b32 s2, 0
	v_fract_f64_e32 v[34:35], v[32:33]
	v_add_f64 v[14:15], v[16:17], v[14:15]
	v_fma_f64 v[16:17], v[24:25], v[22:23], -v[36:37]
	s_mov_b32 s3, 0x7ff00000
	v_add_f64 v[26:27], v[28:29], -v[26:27]
	v_add_f64 v[14:15], v[16:17], v[14:15]
	v_ldexp_f64 v[16:17], v[34:35], 2
	v_cmp_neq_f64_e64 vcc, |v[32:33]|, s[2:3]
	v_add_f64 v[28:29], v[26:27], v[40:41]
	v_mov_b32_e32 v9, 0x40100000
	v_cndmask_b32_e32 v17, 0, v17, vcc
	v_cndmask_b32_e32 v16, 0, v16, vcc
	v_add_f64 v[22:23], v[28:29], v[16:17]
	v_cmp_gt_f64_e32 vcc, 0, v[22:23]
	v_mov_b32_e32 v22, 0
	v_add_f64 v[26:27], v[28:29], -v[26:27]
	v_cndmask_b32_e32 v23, 0, v9, vcc
	v_add_f64 v[16:17], v[16:17], v[22:23]
	v_add_f64 v[24:25], v[28:29], v[16:17]
	v_cvt_i32_f64_e32 v9, v[24:25]
	v_cvt_f64_i32_e32 v[24:25], v9
	v_add_f64 v[16:17], v[16:17], -v[24:25]
	v_add_f64 v[24:25], v[28:29], v[16:17]
	v_add_f64 v[26:27], v[40:41], -v[26:27]
	v_add_f64 v[16:17], v[24:25], -v[16:17]
	v_cmp_le_f64_e32 vcc, 0.5, v[24:25]
	v_mov_b32_e32 v11, 0x3ff00000
	v_add_f64 v[14:15], v[26:27], v[14:15]
	v_add_f64 v[16:17], v[28:29], -v[16:17]
	v_cndmask_b32_e32 v23, 0, v11, vcc
	v_add_f64 v[14:15], v[14:15], v[16:17]
	v_addc_co_u32_e64 v9, s[2:3], 0, v9, vcc
	v_add_f64 v[16:17], v[24:25], -v[22:23]
	v_add_f64 v[22:23], v[16:17], v[14:15]
	s_mov_b32 s2, 0x54442d18
	v_add_f64 v[16:17], v[22:23], -v[16:17]
	s_mov_b32 s3, 0x3ff921fb
	v_add_f64 v[14:15], v[14:15], -v[16:17]
	v_mul_f64 v[16:17], v[22:23], s[2:3]
	s_mov_b32 s16, 0x33145c07
	v_fma_f64 v[24:25], v[22:23], s[2:3], -v[16:17]
	s_mov_b32 s17, 0x3c91a626
	v_fmac_f64_e32 v[24:25], s[16:17], v[22:23]
	v_fmac_f64_e32 v[24:25], s[2:3], v[14:15]
	v_add_f64 v[14:15], v[16:17], v[24:25]
	v_add_f64 v[16:17], v[14:15], -v[16:17]
	v_add_f64 v[16:17], v[24:25], -v[16:17]
.LBB6_3:
	s_andn2_saveexec_b64 s[2:3], s[14:15]
	s_cbranch_execz .LBB6_5
; %bb.4:
	s_mov_b32 s14, 0x6dc9c883
	s_mov_b32 s15, 0x3fe45f30
	v_mul_f64 v[14:15], |v[12:13]|, s[14:15]
	s_mov_b32 s14, 0x54442d18
	v_rndne_f64_e32 v[22:23], v[14:15]
	s_mov_b32 s15, 0xbff921fb
	v_fma_f64 v[14:15], v[22:23], s[14:15], |v[12:13]|
	s_mov_b32 s15, 0xbc91a626
	s_mov_b32 s14, 0x33145c00
	v_mul_f64 v[24:25], v[22:23], s[14:15]
	v_add_f64 v[28:29], v[14:15], v[24:25]
	v_fma_f64 v[16:17], s[14:15], v[22:23], v[14:15]
	s_mov_b32 s15, 0x3c91a626
	v_add_f64 v[14:15], v[14:15], -v[28:29]
	v_fma_f64 v[26:27], s[14:15], v[22:23], v[24:25]
	v_add_f64 v[14:15], v[14:15], v[24:25]
	v_add_f64 v[24:25], v[28:29], -v[16:17]
	v_add_f64 v[14:15], v[24:25], v[14:15]
	s_mov_b32 s14, 0x252049c0
	v_add_f64 v[24:25], v[14:15], -v[26:27]
	s_mov_b32 s15, 0xb97b839a
	v_fmac_f64_e32 v[24:25], s[14:15], v[22:23]
	v_add_f64 v[14:15], v[16:17], v[24:25]
	v_add_f64 v[16:17], v[14:15], -v[16:17]
	v_add_f64 v[16:17], v[24:25], -v[16:17]
	v_cvt_i32_f64_e32 v9, v[22:23]
.LBB6_5:
	s_or_b64 exec, exec, s[2:3]
	s_waitcnt vmcnt(2)
	v_fmac_f64_e64 v[18:19], s[8:9], 0.5
	v_add_f64 v[18:19], v[18:19], -s[12:13]
	v_div_scale_f64 v[22:23], s[2:3], v[20:21], v[20:21], v[18:19]
	v_rcp_f64_e32 v[24:25], v[22:23]
	v_div_scale_f64 v[26:27], vcc, v[18:19], v[20:21], v[18:19]
                                        ; implicit-def: $vgpr11
	v_fma_f64 v[28:29], -v[22:23], v[24:25], 1.0
	v_fmac_f64_e32 v[24:25], v[24:25], v[28:29]
	v_fma_f64 v[28:29], -v[22:23], v[24:25], 1.0
	v_fmac_f64_e32 v[24:25], v[24:25], v[28:29]
	v_mul_f64 v[28:29], v[26:27], v[24:25]
	v_fma_f64 v[22:23], -v[22:23], v[28:29], v[26:27]
	v_div_fmas_f64 v[22:23], v[22:23], v[24:25], v[28:29]
	v_div_fixup_f64 v[18:19], v[22:23], v[20:21], v[18:19]
	v_and_b32_e32 v21, 0x7fffffff, v19
	v_mov_b32_e32 v20, v18
	v_div_scale_f64 v[22:23], s[2:3], v[20:21], v[20:21], 1.0
	v_rcp_f64_e32 v[24:25], v[22:23]
	s_load_dwordx2 s[2:3], s[0:1], 0x0
	s_mov_b32 s0, 0xb5e68a13
	s_mov_b32 s1, 0x3eeba404
	v_fma_f64 v[26:27], -v[22:23], v[24:25], 1.0
	v_fmac_f64_e32 v[24:25], v[24:25], v[26:27]
	v_fma_f64 v[26:27], -v[22:23], v[24:25], 1.0
	v_fmac_f64_e32 v[24:25], v[24:25], v[26:27]
	v_div_scale_f64 v[26:27], vcc, 1.0, v[20:21], 1.0
	v_mul_f64 v[28:29], v[26:27], v[24:25]
	v_fma_f64 v[22:23], -v[22:23], v[28:29], v[26:27]
	s_nop 1
	v_div_fmas_f64 v[22:23], v[22:23], v[24:25], v[28:29]
	v_div_fixup_f64 v[22:23], v[22:23], |v[18:19]|, 1.0
	v_cmp_gt_f64_e64 vcc, |v[18:19]|, 1.0
	v_mov_b32_e32 v24, 0x69efb384
	v_mov_b32_e32 v25, 0x3f4b2bb0
	v_cndmask_b32_e32 v19, v21, v23, vcc
	v_cndmask_b32_e32 v18, v18, v22, vcc
	v_mul_f64 v[20:21], v[18:19], v[18:19]
	v_mov_b32_e32 v22, 0xbd3237f4
	v_mov_b32_e32 v23, 0xbf23e260
	v_fmac_f64_e32 v[22:23], s[0:1], v[20:21]
	v_fmac_f64_e32 v[24:25], v[20:21], v[22:23]
	v_mov_b32_e32 v22, 0xaf56de9b
	v_mov_b32_e32 v23, 0xbf67952d
	v_fmac_f64_e32 v[22:23], v[20:21], v[24:25]
	v_mov_b32_e32 v24, 0xa595c56f
	v_mov_b32_e32 v25, 0x3f7d6d43
	;; [unrolled: 3-line block ×17, first 2 shown]
	v_fmac_f64_e32 v[22:23], v[20:21], v[24:25]
	v_mul_f64 v[20:21], v[20:21], v[22:23]
	s_mov_b32 s0, 0x336a0500
	v_fmac_f64_e32 v[18:19], v[18:19], v[20:21]
	v_mov_b32_e32 v20, 0xeeb562d6
	v_mov_b32_e32 v21, 0x3ffaf154
	s_mov_b32 s1, 0x3fedd9ad
	v_fma_f64 v[20:21], s[0:1], v[20:21], -v[18:19]
	s_mov_b32 s0, 0
	v_cndmask_b32_e32 v19, v19, v21, vcc
	v_cndmask_b32_e32 v18, v18, v20, vcc
	s_mov_b32 s1, 0x41d00000
	v_cmp_nlt_f64_e64 s[0:1], |v[18:19]|, s[0:1]
                                        ; implicit-def: $vgpr20_vgpr21
                                        ; implicit-def: $vgpr22_vgpr23
	s_and_saveexec_b64 s[12:13], s[0:1]
	s_xor_b64 s[12:13], exec, s[12:13]
	s_cbranch_execz .LBB6_7
; %bb.6:
	s_mov_b32 s0, 0
	s_mov_b32 s1, 0x7b000000
	s_movk_i32 s14, 0xff80
	v_and_b32_e32 v11, 0x7fffffff, v19
	v_ldexp_f64 v[24:25], |v[18:19]|, s14
	v_cmp_ge_f64_e64 vcc, |v[18:19]|, s[0:1]
	v_trig_preop_f64 v[20:21], |v[18:19]|, 0
	v_trig_preop_f64 v[22:23], |v[18:19]|, 1
	v_cndmask_b32_e32 v25, v11, v25, vcc
	v_cndmask_b32_e32 v24, v18, v24, vcc
	v_mul_f64 v[28:29], v[20:21], v[24:25]
	v_mul_f64 v[26:27], v[22:23], v[24:25]
	v_fma_f64 v[20:21], v[20:21], v[24:25], -v[28:29]
	v_add_f64 v[30:31], v[26:27], v[20:21]
	v_add_f64 v[38:39], v[30:31], -v[26:27]
	v_add_f64 v[20:21], v[20:21], -v[38:39]
	;; [unrolled: 1-line block ×4, first 2 shown]
	v_fma_f64 v[22:23], v[22:23], v[24:25], -v[26:27]
	v_trig_preop_f64 v[26:27], |v[18:19]|, 2
	v_add_f64 v[20:21], v[20:21], v[38:39]
	v_mul_f64 v[38:39], v[26:27], v[24:25]
	v_add_f64 v[40:41], v[38:39], v[22:23]
	v_add_f64 v[32:33], v[28:29], v[30:31]
	;; [unrolled: 1-line block ×3, first 2 shown]
	v_ldexp_f64 v[34:35], v[32:33], -2
	v_add_f64 v[28:29], v[32:33], -v[28:29]
	v_add_f64 v[32:33], v[42:43], -v[40:41]
	v_add_f64 v[20:21], v[20:21], -v[32:33]
	v_add_f64 v[32:33], v[42:43], -v[32:33]
	v_add_f64 v[32:33], v[40:41], -v[32:33]
	v_add_f64 v[20:21], v[20:21], v[32:33]
	v_add_f64 v[32:33], v[40:41], -v[38:39]
	v_add_f64 v[22:23], v[22:23], -v[32:33]
	;; [unrolled: 1-line block ×4, first 2 shown]
	v_add_f64 v[22:23], v[22:23], v[32:33]
	s_mov_b32 s0, 0
	v_fract_f64_e32 v[36:37], v[34:35]
	v_add_f64 v[20:21], v[22:23], v[20:21]
	v_fma_f64 v[22:23], v[26:27], v[24:25], -v[38:39]
	s_mov_b32 s1, 0x7ff00000
	v_add_f64 v[28:29], v[30:31], -v[28:29]
	v_add_f64 v[20:21], v[22:23], v[20:21]
	v_ldexp_f64 v[22:23], v[36:37], 2
	v_cmp_neq_f64_e64 vcc, |v[34:35]|, s[0:1]
	v_add_f64 v[30:31], v[28:29], v[42:43]
	v_mov_b32_e32 v11, 0x40100000
	v_cndmask_b32_e32 v23, 0, v23, vcc
	v_cndmask_b32_e32 v22, 0, v22, vcc
	v_add_f64 v[24:25], v[30:31], v[22:23]
	v_cmp_gt_f64_e32 vcc, 0, v[24:25]
	v_mov_b32_e32 v24, 0
	v_add_f64 v[28:29], v[30:31], -v[28:29]
	v_cndmask_b32_e32 v25, 0, v11, vcc
	v_add_f64 v[22:23], v[22:23], v[24:25]
	v_add_f64 v[26:27], v[30:31], v[22:23]
	v_cvt_i32_f64_e32 v11, v[26:27]
	v_cvt_f64_i32_e32 v[26:27], v11
	v_add_f64 v[22:23], v[22:23], -v[26:27]
	v_add_f64 v[26:27], v[30:31], v[22:23]
	v_add_f64 v[28:29], v[42:43], -v[28:29]
	v_add_f64 v[22:23], v[26:27], -v[22:23]
	v_add_f64 v[20:21], v[28:29], v[20:21]
	v_add_f64 v[22:23], v[30:31], -v[22:23]
	v_add_f64 v[20:21], v[20:21], v[22:23]
	v_cmp_le_f64_e32 vcc, 0.5, v[26:27]
	v_mov_b32_e32 v22, 0x3ff00000
	s_mov_b32 s14, 0x33145c07
	v_cndmask_b32_e32 v25, 0, v22, vcc
	v_addc_co_u32_e64 v11, s[0:1], 0, v11, vcc
	v_add_f64 v[22:23], v[26:27], -v[24:25]
	v_add_f64 v[24:25], v[22:23], v[20:21]
	s_mov_b32 s0, 0x54442d18
	v_add_f64 v[22:23], v[24:25], -v[22:23]
	s_mov_b32 s1, 0x3ff921fb
	v_add_f64 v[20:21], v[20:21], -v[22:23]
	v_mul_f64 v[22:23], v[24:25], s[0:1]
	v_fma_f64 v[26:27], v[24:25], s[0:1], -v[22:23]
	s_mov_b32 s15, 0x3c91a626
	v_fmac_f64_e32 v[26:27], s[14:15], v[24:25]
	v_fmac_f64_e32 v[26:27], s[0:1], v[20:21]
	v_add_f64 v[20:21], v[22:23], v[26:27]
	v_add_f64 v[22:23], v[20:21], -v[22:23]
	v_add_f64 v[22:23], v[26:27], -v[22:23]
.LBB6_7:
	s_andn2_saveexec_b64 s[0:1], s[12:13]
	s_cbranch_execz .LBB6_9
; %bb.8:
	s_mov_b32 s12, 0x6dc9c883
	s_mov_b32 s13, 0x3fe45f30
	v_mul_f64 v[20:21], |v[18:19]|, s[12:13]
	s_mov_b32 s12, 0x54442d18
	v_rndne_f64_e32 v[24:25], v[20:21]
	s_mov_b32 s13, 0xbff921fb
	v_fma_f64 v[20:21], v[24:25], s[12:13], |v[18:19]|
	s_mov_b32 s13, 0xbc91a626
	s_mov_b32 s12, 0x33145c00
	v_mul_f64 v[26:27], v[24:25], s[12:13]
	v_add_f64 v[30:31], v[20:21], v[26:27]
	v_fma_f64 v[22:23], s[12:13], v[24:25], v[20:21]
	s_mov_b32 s13, 0x3c91a626
	v_add_f64 v[20:21], v[20:21], -v[30:31]
	v_fma_f64 v[28:29], s[12:13], v[24:25], v[26:27]
	v_add_f64 v[20:21], v[20:21], v[26:27]
	v_add_f64 v[26:27], v[30:31], -v[22:23]
	v_add_f64 v[20:21], v[26:27], v[20:21]
	s_mov_b32 s12, 0x252049c0
	v_add_f64 v[26:27], v[20:21], -v[28:29]
	s_mov_b32 s13, 0xb97b839a
	v_fmac_f64_e32 v[26:27], s[12:13], v[24:25]
	v_add_f64 v[20:21], v[22:23], v[26:27]
	v_add_f64 v[22:23], v[20:21], -v[22:23]
	v_add_f64 v[22:23], v[26:27], -v[22:23]
	v_cvt_i32_f64_e32 v11, v[24:25]
.LBB6_9:
	s_or_b64 exec, exec, s[0:1]
	v_mul_f64 v[30:31], v[14:15], v[14:15]
	v_mul_f64 v[24:25], v[30:31], 0.5
	v_add_f64 v[26:27], -v[24:25], 1.0
	s_mov_b32 s0, 0x9037ab78
	v_add_f64 v[28:29], -v[26:27], 1.0
	s_mov_b32 s1, 0x3e21eeb6
	s_mov_b32 s12, 0x46cc5e42
	v_add_f64 v[28:29], v[28:29], -v[24:25]
	s_mov_b32 s13, 0xbda907db
	v_mov_b64_e32 v[24:25], s[0:1]
	s_mov_b32 s14, 0xa17f65f6
	v_fma_f64 v[34:35], s[12:13], v[30:31], v[24:25]
	s_mov_b32 s15, 0xbe927e4f
	s_mov_b32 s16, 0x19f4ec90
	v_fma_f64 v[34:35], v[30:31], v[34:35], s[14:15]
	s_mov_b32 s17, 0x3efa01a0
	;; [unrolled: 3-line block ×4, first 2 shown]
	v_mul_f64 v[32:33], v[30:31], v[30:31]
	v_fma_f64 v[34:35], v[30:31], v[34:35], s[22:23]
	v_fma_f64 v[28:29], v[14:15], -v[16:17], v[28:29]
	s_mov_b32 s0, 0xb42fdfa7
	v_fmac_f64_e32 v[28:29], v[32:33], v[34:35]
	s_mov_b32 s1, 0xbe5ae600
	s_mov_b32 s28, 0xf9a43bb8
	v_add_f64 v[28:29], v[26:27], v[28:29]
	s_mov_b32 s29, 0x3de5e0b2
	v_mov_b64_e32 v[26:27], s[0:1]
	s_mov_b32 s30, 0x796cde01
	v_fma_f64 v[32:33], s[28:29], v[30:31], v[26:27]
	s_mov_b32 s31, 0x3ec71de3
	s_mov_b32 s34, 0x19e83e5c
	v_fma_f64 v[32:33], v[30:31], v[32:33], s[30:31]
	s_mov_b32 s35, 0xbf2a01a0
	;; [unrolled: 3-line block ×3, first 2 shown]
	v_fma_f64 v[32:33], v[30:31], v[32:33], s[36:37]
	v_mul_f64 v[34:35], v[14:15], -v[30:31]
	v_mul_f64 v[36:37], v[16:17], 0.5
	s_mul_i32 s0, s26, s24
	v_fmac_f64_e32 v[36:37], v[34:35], v[32:33]
	v_add_u32_e32 v10, s0, v10
	v_fma_f64 v[16:17], v[30:31], v[36:37], -v[16:17]
	v_mad_u64_u32 v[30:31], s[0:1], v10, s25, v[8:9]
	v_ashrrev_i32_e32 v31, 31, v30
	s_waitcnt lgkmcnt(0)
	v_lshl_add_u64 v[30:31], v[30:31], 3, s[2:3]
	global_load_dwordx2 v[32:33], v[30:31], off
	s_mov_b32 s39, 0xbfc55555
	s_mov_b32 s38, s22
	v_fmac_f64_e32 v[16:17], s[38:39], v[34:35]
	v_and_b32_e32 v10, 1, v9
	v_add_f64 v[14:15], v[14:15], -v[16:17]
	v_cmp_eq_u32_e32 vcc, 0, v10
	v_xor_b32_e32 v8, 0x80000000, v15
	s_brev_b32 s2, 1
	v_cndmask_b32_e32 v10, v14, v28, vcc
	v_mul_f64 v[14:15], v[20:21], v[20:21]
	v_mul_f64 v[16:17], v[14:15], 0.5
	v_fmac_f64_e32 v[24:25], s[12:13], v[14:15]
	v_cndmask_b32_e32 v8, v8, v29, vcc
	v_add_f64 v[28:29], -v[16:17], 1.0
	v_fma_f64 v[24:25], v[14:15], v[24:25], s[14:15]
	v_add_f64 v[34:35], -v[28:29], 1.0
	v_fma_f64 v[24:25], v[14:15], v[24:25], s[16:17]
	v_add_f64 v[16:17], v[34:35], -v[16:17]
	v_fma_f64 v[24:25], v[14:15], v[24:25], s[18:19]
	v_mul_f64 v[34:35], v[14:15], v[14:15]
	v_fma_f64 v[24:25], v[14:15], v[24:25], s[22:23]
	v_fma_f64 v[16:17], v[20:21], -v[22:23], v[16:17]
	v_fmac_f64_e32 v[26:27], s[28:29], v[14:15]
	v_fmac_f64_e32 v[16:17], v[34:35], v[24:25]
	v_fma_f64 v[24:25], v[14:15], v[26:27], s[30:31]
	v_fma_f64 v[24:25], v[14:15], v[24:25], s[34:35]
	v_add_f64 v[16:17], v[28:29], v[16:17]
	v_fma_f64 v[24:25], v[14:15], v[24:25], s[36:37]
	v_mul_f64 v[26:27], v[20:21], -v[14:15]
	v_mul_f64 v[28:29], v[22:23], 0.5
	v_fmac_f64_e32 v[28:29], v[26:27], v[24:25]
	v_lshlrev_b32_e32 v9, 30, v9
	s_movk_i32 s3, 0x1f8
	v_fma_f64 v[14:15], v[14:15], v[28:29], -v[22:23]
	v_bitop3_b32 v9, v8, v9, s2 bitop3:0x78
	v_cmp_class_f64_e64 vcc, v[12:13], s3
	v_mov_b32_e32 v36, 0x7ff80000
	v_fmac_f64_e32 v[14:15], s[38:39], v[26:27]
	v_cndmask_b32_e32 v8, 0, v10, vcc
	v_cndmask_b32_e32 v9, v36, v9, vcc
	s_waitcnt vmcnt(2)
	v_cmp_eq_f64_e32 vcc, 0, v[2:3]
	s_waitcnt vmcnt(1)
	v_cmp_eq_f64_e64 s[0:1], 0, v[6:7]
	v_add_f64 v[14:15], v[20:21], -v[14:15]
	s_and_b64 vcc, vcc, s[0:1]
	v_xor_b32_e32 v10, 0x80000000, v15
	v_and_b32_e32 v15, 1, v11
	v_cndmask_b32_e32 v3, v3, v1, vcc
	v_cndmask_b32_e32 v2, v2, v0, vcc
	;; [unrolled: 1-line block ×4, first 2 shown]
	v_cmp_eq_u32_e32 vcc, 0, v15
	v_lshlrev_b32_e32 v11, 30, v11
	v_mov_b32_e32 v12, s6
	v_cndmask_b32_e32 v10, v10, v17, vcc
	v_cndmask_b32_e32 v14, v14, v16, vcc
	v_bitop3_b32 v11, v10, v11, s2 bitop3:0x78
	v_cmp_class_f64_e64 vcc, v[18:19], s3
	v_mov_b32_e32 v13, s7
	v_mul_f64 v[12:13], s[4:5], v[12:13]
	v_cndmask_b32_e32 v10, 0, v14, vcc
	v_cndmask_b32_e32 v11, v36, v11, vcc
	v_mul_f64 v[8:9], v[8:9], v[10:11]
	v_mul_f64 v[8:9], s[8:9], v[8:9]
	;; [unrolled: 1-line block ×4, first 2 shown]
	v_div_scale_f64 v[10:11], s[0:1], v[8:9], v[8:9], v[12:13]
	v_rcp_f64_e32 v[14:15], v[10:11]
	v_add_f64 v[2:3], v[6:7], -v[2:3]
	v_add_f64 v[2:3], v[2:3], -v[4:5]
	v_add_f64 v[0:1], v[0:1], v[2:3]
	v_fma_f64 v[2:3], -v[10:11], v[14:15], 1.0
	v_fmac_f64_e32 v[14:15], v[14:15], v[2:3]
	v_fma_f64 v[2:3], -v[10:11], v[14:15], 1.0
	v_fmac_f64_e32 v[14:15], v[14:15], v[2:3]
	v_div_scale_f64 v[2:3], vcc, v[12:13], v[8:9], v[12:13]
	v_mul_f64 v[4:5], v[2:3], v[14:15]
	v_fma_f64 v[2:3], -v[10:11], v[4:5], v[2:3]
	s_nop 1
	v_div_fmas_f64 v[2:3], v[2:3], v[14:15], v[4:5]
	v_div_fixup_f64 v[2:3], v[2:3], v[8:9], v[12:13]
	s_waitcnt vmcnt(0)
	v_fmac_f64_e32 v[32:33], v[0:1], v[2:3]
	global_store_dwordx2 v[30:31], v[32:33], off
.LBB6_10:
	s_endpgm
	.section	.rodata,"a",@progbits
	.p2align	6, 0x0
	.amdhsa_kernel _Z22differentiation_kernelPdPKddddS1_S1_S1_iiiidddddi
		.amdhsa_group_segment_fixed_size 0
		.amdhsa_private_segment_fixed_size 0
		.amdhsa_kernarg_size 384
		.amdhsa_user_sgpr_count 2
		.amdhsa_user_sgpr_dispatch_ptr 0
		.amdhsa_user_sgpr_queue_ptr 0
		.amdhsa_user_sgpr_kernarg_segment_ptr 1
		.amdhsa_user_sgpr_dispatch_id 0
		.amdhsa_user_sgpr_kernarg_preload_length 0
		.amdhsa_user_sgpr_kernarg_preload_offset 0
		.amdhsa_user_sgpr_private_segment_size 0
		.amdhsa_uses_dynamic_stack 0
		.amdhsa_enable_private_segment 0
		.amdhsa_system_sgpr_workgroup_id_x 1
		.amdhsa_system_sgpr_workgroup_id_y 1
		.amdhsa_system_sgpr_workgroup_id_z 0
		.amdhsa_system_sgpr_workgroup_info 0
		.amdhsa_system_vgpr_workitem_id 1
		.amdhsa_next_free_vgpr 60
		.amdhsa_next_free_sgpr 40
		.amdhsa_accum_offset 60
		.amdhsa_reserve_vcc 1
		.amdhsa_float_round_mode_32 0
		.amdhsa_float_round_mode_16_64 0
		.amdhsa_float_denorm_mode_32 3
		.amdhsa_float_denorm_mode_16_64 3
		.amdhsa_dx10_clamp 1
		.amdhsa_ieee_mode 1
		.amdhsa_fp16_overflow 0
		.amdhsa_tg_split 0
		.amdhsa_exception_fp_ieee_invalid_op 0
		.amdhsa_exception_fp_denorm_src 0
		.amdhsa_exception_fp_ieee_div_zero 0
		.amdhsa_exception_fp_ieee_overflow 0
		.amdhsa_exception_fp_ieee_underflow 0
		.amdhsa_exception_fp_ieee_inexact 0
		.amdhsa_exception_int_div_zero 0
	.end_amdhsa_kernel
	.text
.Lfunc_end6:
	.size	_Z22differentiation_kernelPdPKddddS1_S1_S1_iiiidddddi, .Lfunc_end6-_Z22differentiation_kernelPdPKddddS1_S1_S1_iiiidddddi
                                        ; -- End function
	.set _Z22differentiation_kernelPdPKddddS1_S1_S1_iiiidddddi.num_vgpr, 60
	.set _Z22differentiation_kernelPdPKddddS1_S1_S1_iiiidddddi.num_agpr, 0
	.set _Z22differentiation_kernelPdPKddddS1_S1_S1_iiiidddddi.numbered_sgpr, 40
	.set _Z22differentiation_kernelPdPKddddS1_S1_S1_iiiidddddi.num_named_barrier, 0
	.set _Z22differentiation_kernelPdPKddddS1_S1_S1_iiiidddddi.private_seg_size, 0
	.set _Z22differentiation_kernelPdPKddddS1_S1_S1_iiiidddddi.uses_vcc, 1
	.set _Z22differentiation_kernelPdPKddddS1_S1_S1_iiiidddddi.uses_flat_scratch, 0
	.set _Z22differentiation_kernelPdPKddddS1_S1_S1_iiiidddddi.has_dyn_sized_stack, 0
	.set _Z22differentiation_kernelPdPKddddS1_S1_S1_iiiidddddi.has_recursion, 0
	.set _Z22differentiation_kernelPdPKddddS1_S1_S1_iiiidddddi.has_indirect_call, 0
	.section	.AMDGPU.csdata,"",@progbits
; Kernel info:
; codeLenInByte = 4248
; TotalNumSgprs: 46
; NumVgprs: 60
; NumAgprs: 0
; TotalNumVgprs: 60
; ScratchSize: 0
; MemoryBound: 0
; FloatMode: 240
; IeeeMode: 1
; LDSByteSize: 0 bytes/workgroup (compile time only)
; SGPRBlocks: 5
; VGPRBlocks: 7
; NumSGPRsForWavesPerEU: 46
; NumVGPRsForWavesPerEU: 60
; AccumOffset: 60
; Occupancy: 8
; WaveLimiterHint : 0
; COMPUTE_PGM_RSRC2:SCRATCH_EN: 0
; COMPUTE_PGM_RSRC2:USER_SGPR: 2
; COMPUTE_PGM_RSRC2:TRAP_HANDLER: 0
; COMPUTE_PGM_RSRC2:TGID_X_EN: 1
; COMPUTE_PGM_RSRC2:TGID_Y_EN: 1
; COMPUTE_PGM_RSRC2:TGID_Z_EN: 0
; COMPUTE_PGM_RSRC2:TIDIG_COMP_CNT: 1
; COMPUTE_PGM_RSRC3_GFX90A:ACCUM_OFFSET: 14
; COMPUTE_PGM_RSRC3_GFX90A:TG_SPLIT: 0
	.text
	.protected	_Z15division_kernelPdiiii ; -- Begin function _Z15division_kernelPdiiii
	.globl	_Z15division_kernelPdiiii
	.p2align	8
	.type	_Z15division_kernelPdiiii,@function
_Z15division_kernelPdiiii:              ; @_Z15division_kernelPdiiii
; %bb.0:
	s_load_dwordx2 s[6:7], s[0:1], 0x24
	s_load_dwordx4 s[8:11], s[0:1], 0x8
	v_and_b32_e32 v1, 0x3ff, v0
	s_waitcnt lgkmcnt(0)
	s_and_b32 s5, s7, 0xffff
	s_lshr_b32 s7, s6, 16
	s_and_b32 s6, s6, 0xffff
	s_mul_i32 s2, s2, s6
	v_add_u32_e32 v2, s2, v1
	s_mul_i32 s3, s3, s7
	v_bfe_u32 v1, v0, 10, 10
	v_add_u32_e32 v4, s3, v1
	s_mul_i32 s4, s4, s5
	v_bfe_u32 v0, v0, 20, 10
	v_add_u32_e32 v0, s4, v0
	v_cmp_gt_i32_e32 vcc, s9, v2
	v_cmp_gt_i32_e64 s[2:3], s8, v4
	s_and_b64 s[2:3], vcc, s[2:3]
	v_cmp_gt_i32_e32 vcc, s10, v0
	s_and_b64 s[2:3], s[2:3], vcc
	s_and_saveexec_b64 s[4:5], s[2:3]
	s_cbranch_execz .LBB7_2
; %bb.1:
	s_load_dwordx2 s[0:1], s[0:1], 0x0
	v_mad_u64_u32 v[0:1], s[2:3], v0, s8, v[4:5]
	v_mad_u64_u32 v[0:1], s[2:3], v0, s9, v[2:3]
	v_ashrrev_i32_e32 v1, 31, v0
	s_waitcnt lgkmcnt(0)
	v_lshl_add_u64 v[0:1], v[0:1], 3, s[0:1]
	global_load_dwordx2 v[2:3], v[0:1], off
	v_cvt_f64_i32_e32 v[4:5], s11
	s_waitcnt vmcnt(0)
	v_div_scale_f64 v[6:7], s[0:1], v[4:5], v[4:5], v[2:3]
	v_rcp_f64_e32 v[8:9], v[6:7]
	v_div_scale_f64 v[10:11], vcc, v[2:3], v[4:5], v[2:3]
	v_fma_f64 v[12:13], -v[6:7], v[8:9], 1.0
	v_fmac_f64_e32 v[8:9], v[8:9], v[12:13]
	v_fma_f64 v[12:13], -v[6:7], v[8:9], 1.0
	v_fmac_f64_e32 v[8:9], v[8:9], v[12:13]
	v_mul_f64 v[12:13], v[10:11], v[8:9]
	v_fma_f64 v[6:7], -v[6:7], v[12:13], v[10:11]
	v_div_fmas_f64 v[6:7], v[6:7], v[8:9], v[12:13]
	v_div_fixup_f64 v[2:3], v[6:7], v[4:5], v[2:3]
	global_store_dwordx2 v[0:1], v[2:3], off
.LBB7_2:
	s_endpgm
	.section	.rodata,"a",@progbits
	.p2align	6, 0x0
	.amdhsa_kernel _Z15division_kernelPdiiii
		.amdhsa_group_segment_fixed_size 0
		.amdhsa_private_segment_fixed_size 0
		.amdhsa_kernarg_size 280
		.amdhsa_user_sgpr_count 2
		.amdhsa_user_sgpr_dispatch_ptr 0
		.amdhsa_user_sgpr_queue_ptr 0
		.amdhsa_user_sgpr_kernarg_segment_ptr 1
		.amdhsa_user_sgpr_dispatch_id 0
		.amdhsa_user_sgpr_kernarg_preload_length 0
		.amdhsa_user_sgpr_kernarg_preload_offset 0
		.amdhsa_user_sgpr_private_segment_size 0
		.amdhsa_uses_dynamic_stack 0
		.amdhsa_enable_private_segment 0
		.amdhsa_system_sgpr_workgroup_id_x 1
		.amdhsa_system_sgpr_workgroup_id_y 1
		.amdhsa_system_sgpr_workgroup_id_z 1
		.amdhsa_system_sgpr_workgroup_info 0
		.amdhsa_system_vgpr_workitem_id 2
		.amdhsa_next_free_vgpr 14
		.amdhsa_next_free_sgpr 12
		.amdhsa_accum_offset 16
		.amdhsa_reserve_vcc 1
		.amdhsa_float_round_mode_32 0
		.amdhsa_float_round_mode_16_64 0
		.amdhsa_float_denorm_mode_32 3
		.amdhsa_float_denorm_mode_16_64 3
		.amdhsa_dx10_clamp 1
		.amdhsa_ieee_mode 1
		.amdhsa_fp16_overflow 0
		.amdhsa_tg_split 0
		.amdhsa_exception_fp_ieee_invalid_op 0
		.amdhsa_exception_fp_denorm_src 0
		.amdhsa_exception_fp_ieee_div_zero 0
		.amdhsa_exception_fp_ieee_overflow 0
		.amdhsa_exception_fp_ieee_underflow 0
		.amdhsa_exception_fp_ieee_inexact 0
		.amdhsa_exception_int_div_zero 0
	.end_amdhsa_kernel
	.text
.Lfunc_end7:
	.size	_Z15division_kernelPdiiii, .Lfunc_end7-_Z15division_kernelPdiiii
                                        ; -- End function
	.set _Z15division_kernelPdiiii.num_vgpr, 14
	.set _Z15division_kernelPdiiii.num_agpr, 0
	.set _Z15division_kernelPdiiii.numbered_sgpr, 12
	.set _Z15division_kernelPdiiii.num_named_barrier, 0
	.set _Z15division_kernelPdiiii.private_seg_size, 0
	.set _Z15division_kernelPdiiii.uses_vcc, 1
	.set _Z15division_kernelPdiiii.uses_flat_scratch, 0
	.set _Z15division_kernelPdiiii.has_dyn_sized_stack, 0
	.set _Z15division_kernelPdiiii.has_recursion, 0
	.set _Z15division_kernelPdiiii.has_indirect_call, 0
	.section	.AMDGPU.csdata,"",@progbits
; Kernel info:
; codeLenInByte = 264
; TotalNumSgprs: 18
; NumVgprs: 14
; NumAgprs: 0
; TotalNumVgprs: 14
; ScratchSize: 0
; MemoryBound: 0
; FloatMode: 240
; IeeeMode: 1
; LDSByteSize: 0 bytes/workgroup (compile time only)
; SGPRBlocks: 2
; VGPRBlocks: 1
; NumSGPRsForWavesPerEU: 18
; NumVGPRsForWavesPerEU: 14
; AccumOffset: 16
; Occupancy: 8
; WaveLimiterHint : 0
; COMPUTE_PGM_RSRC2:SCRATCH_EN: 0
; COMPUTE_PGM_RSRC2:USER_SGPR: 2
; COMPUTE_PGM_RSRC2:TRAP_HANDLER: 0
; COMPUTE_PGM_RSRC2:TGID_X_EN: 1
; COMPUTE_PGM_RSRC2:TGID_Y_EN: 1
; COMPUTE_PGM_RSRC2:TGID_Z_EN: 1
; COMPUTE_PGM_RSRC2:TIDIG_COMP_CNT: 2
; COMPUTE_PGM_RSRC3_GFX90A:ACCUM_OFFSET: 3
; COMPUTE_PGM_RSRC3_GFX90A:TG_SPLIT: 0
	.text
	.p2alignl 6, 3212836864
	.fill 256, 4, 3212836864
	.section	.AMDGPU.gpr_maximums,"",@progbits
	.set amdgpu.max_num_vgpr, 0
	.set amdgpu.max_num_agpr, 0
	.set amdgpu.max_num_sgpr, 0
	.text
	.type	__hip_cuid_89e520489cc41a9e,@object ; @__hip_cuid_89e520489cc41a9e
	.section	.bss,"aw",@nobits
	.globl	__hip_cuid_89e520489cc41a9e
__hip_cuid_89e520489cc41a9e:
	.byte	0                               ; 0x0
	.size	__hip_cuid_89e520489cc41a9e, 1

	.ident	"AMD clang version 22.0.0git (https://github.com/RadeonOpenCompute/llvm-project roc-7.2.4 26084 f58b06dce1f9c15707c5f808fd002e18c2accf7e)"
	.section	".note.GNU-stack","",@progbits
	.addrsig
	.addrsig_sym __hip_cuid_89e520489cc41a9e
	.amdgpu_metadata
---
amdhsa.kernels:
  - .agpr_count:     0
    .args:
      - .address_space:  global
        .offset:         0
        .size:           8
        .value_kind:     global_buffer
      - .offset:         8
        .size:           4
        .value_kind:     by_value
      - .offset:         12
        .size:           4
        .value_kind:     by_value
      - .offset:         16
        .size:           4
        .value_kind:     by_value
      - .offset:         20
        .size:           4
        .value_kind:     by_value
      - .offset:         24
        .size:           4
        .value_kind:     hidden_block_count_x
      - .offset:         28
        .size:           4
        .value_kind:     hidden_block_count_y
      - .offset:         32
        .size:           4
        .value_kind:     hidden_block_count_z
      - .offset:         36
        .size:           2
        .value_kind:     hidden_group_size_x
      - .offset:         38
        .size:           2
        .value_kind:     hidden_group_size_y
      - .offset:         40
        .size:           2
        .value_kind:     hidden_group_size_z
      - .offset:         42
        .size:           2
        .value_kind:     hidden_remainder_x
      - .offset:         44
        .size:           2
        .value_kind:     hidden_remainder_y
      - .offset:         46
        .size:           2
        .value_kind:     hidden_remainder_z
      - .offset:         64
        .size:           8
        .value_kind:     hidden_global_offset_x
      - .offset:         72
        .size:           8
        .value_kind:     hidden_global_offset_y
      - .offset:         80
        .size:           8
        .value_kind:     hidden_global_offset_z
      - .offset:         88
        .size:           2
        .value_kind:     hidden_grid_dims
    .group_segment_fixed_size: 0
    .kernarg_segment_align: 8
    .kernarg_segment_size: 280
    .language:       OpenCL C
    .language_version:
      - 2
      - 0
    .max_flat_workgroup_size: 1024
    .name:           _Z22pad_projections_kernelPdiiii
    .private_segment_fixed_size: 0
    .sgpr_count:     14
    .sgpr_spill_count: 0
    .symbol:         _Z22pad_projections_kernelPdiiii.kd
    .uniform_work_group_size: 1
    .uses_dynamic_stack: false
    .vgpr_count:     4
    .vgpr_spill_count: 0
    .wavefront_size: 64
  - .agpr_count:     0
    .args:
      - .address_space:  global
        .offset:         0
        .size:           8
        .value_kind:     global_buffer
      - .offset:         8
        .size:           4
        .value_kind:     by_value
      - .offset:         16
        .size:           8
        .value_kind:     by_value
      - .offset:         24
        .size:           8
        .value_kind:     by_value
      - .offset:         32
        .size:           8
        .value_kind:     by_value
      - .offset:         40
        .size:           4
        .value_kind:     hidden_block_count_x
      - .offset:         44
        .size:           4
        .value_kind:     hidden_block_count_y
      - .offset:         48
        .size:           4
        .value_kind:     hidden_block_count_z
      - .offset:         52
        .size:           2
        .value_kind:     hidden_group_size_x
      - .offset:         54
        .size:           2
        .value_kind:     hidden_group_size_y
      - .offset:         56
        .size:           2
        .value_kind:     hidden_group_size_z
      - .offset:         58
        .size:           2
        .value_kind:     hidden_remainder_x
      - .offset:         60
        .size:           2
        .value_kind:     hidden_remainder_y
      - .offset:         62
        .size:           2
        .value_kind:     hidden_remainder_z
      - .offset:         80
        .size:           8
        .value_kind:     hidden_global_offset_x
      - .offset:         88
        .size:           8
        .value_kind:     hidden_global_offset_y
      - .offset:         96
        .size:           8
        .value_kind:     hidden_global_offset_z
      - .offset:         104
        .size:           2
        .value_kind:     hidden_grid_dims
    .group_segment_fixed_size: 0
    .kernarg_segment_align: 8
    .kernarg_segment_size: 296
    .language:       OpenCL C
    .language_version:
      - 2
      - 0
    .max_flat_workgroup_size: 1024
    .name:           _Z20map_boudaries_kernelPdiddd
    .private_segment_fixed_size: 0
    .sgpr_count:     16
    .sgpr_spill_count: 0
    .symbol:         _Z20map_boudaries_kernelPdiddd.kd
    .uniform_work_group_size: 1
    .uses_dynamic_stack: false
    .vgpr_count:     6
    .vgpr_spill_count: 0
    .wavefront_size: 64
  - .agpr_count:     0
    .args:
      - .actual_access:  write_only
        .address_space:  global
        .offset:         0
        .size:           8
        .value_kind:     global_buffer
      - .actual_access:  write_only
        .address_space:  global
        .offset:         8
        .size:           8
        .value_kind:     global_buffer
      - .actual_access:  read_only
        .address_space:  global
        .offset:         16
        .size:           8
        .value_kind:     global_buffer
      - .actual_access:  read_only
        .address_space:  global
        .offset:         24
        .size:           8
        .value_kind:     global_buffer
      - .offset:         32
        .size:           8
        .value_kind:     by_value
      - .offset:         40
        .size:           8
        .value_kind:     by_value
      - .offset:         48
        .size:           8
        .value_kind:     by_value
      - .offset:         56
        .size:           4
        .value_kind:     by_value
      - .offset:         64
        .size:           4
        .value_kind:     hidden_block_count_x
      - .offset:         68
        .size:           4
        .value_kind:     hidden_block_count_y
      - .offset:         72
        .size:           4
        .value_kind:     hidden_block_count_z
      - .offset:         76
        .size:           2
        .value_kind:     hidden_group_size_x
      - .offset:         78
        .size:           2
        .value_kind:     hidden_group_size_y
      - .offset:         80
        .size:           2
        .value_kind:     hidden_group_size_z
      - .offset:         82
        .size:           2
        .value_kind:     hidden_remainder_x
      - .offset:         84
        .size:           2
        .value_kind:     hidden_remainder_y
      - .offset:         86
        .size:           2
        .value_kind:     hidden_remainder_z
      - .offset:         104
        .size:           8
        .value_kind:     hidden_global_offset_x
      - .offset:         112
        .size:           8
        .value_kind:     hidden_global_offset_y
      - .offset:         120
        .size:           8
        .value_kind:     hidden_global_offset_z
      - .offset:         128
        .size:           2
        .value_kind:     hidden_grid_dims
    .group_segment_fixed_size: 0
    .kernarg_segment_align: 8
    .kernarg_segment_size: 320
    .language:       OpenCL C
    .language_version:
      - 2
      - 0
    .max_flat_workgroup_size: 1024
    .name:           _Z19rot_detector_kernelPdS_PKdS1_dddi
    .private_segment_fixed_size: 0
    .sgpr_count:     44
    .sgpr_spill_count: 0
    .symbol:         _Z19rot_detector_kernelPdS_PKdS1_dddi.kd
    .uniform_work_group_size: 1
    .uses_dynamic_stack: false
    .vgpr_count:     40
    .vgpr_spill_count: 0
    .wavefront_size: 64
  - .agpr_count:     0
    .args:
      - .actual_access:  write_only
        .address_space:  global
        .offset:         0
        .size:           8
        .value_kind:     global_buffer
      - .actual_access:  write_only
        .address_space:  global
        .offset:         8
        .size:           8
        .value_kind:     global_buffer
      - .offset:         16
        .size:           8
        .value_kind:     by_value
      - .offset:         24
        .size:           8
        .value_kind:     by_value
      - .offset:         32
        .size:           8
        .value_kind:     by_value
      - .actual_access:  read_only
        .address_space:  global
        .offset:         40
        .size:           8
        .value_kind:     global_buffer
      - .actual_access:  read_only
        .address_space:  global
        .offset:         48
        .size:           8
        .value_kind:     global_buffer
      - .actual_access:  read_only
        .address_space:  global
        .offset:         56
        .size:           8
        .value_kind:     global_buffer
      - .actual_access:  read_only
        .address_space:  global
        .offset:         64
        .size:           8
        .value_kind:     global_buffer
      - .offset:         72
        .size:           4
        .value_kind:     by_value
      - .offset:         76
        .size:           4
        .value_kind:     by_value
      - .offset:         80
        .size:           4
        .value_kind:     by_value
      - .offset:         88
        .size:           4
        .value_kind:     hidden_block_count_x
      - .offset:         92
        .size:           4
        .value_kind:     hidden_block_count_y
      - .offset:         96
        .size:           4
        .value_kind:     hidden_block_count_z
      - .offset:         100
        .size:           2
        .value_kind:     hidden_group_size_x
      - .offset:         102
        .size:           2
        .value_kind:     hidden_group_size_y
      - .offset:         104
        .size:           2
        .value_kind:     hidden_group_size_z
      - .offset:         106
        .size:           2
        .value_kind:     hidden_remainder_x
      - .offset:         108
        .size:           2
        .value_kind:     hidden_remainder_y
      - .offset:         110
        .size:           2
        .value_kind:     hidden_remainder_z
      - .offset:         128
        .size:           8
        .value_kind:     hidden_global_offset_x
      - .offset:         136
        .size:           8
        .value_kind:     hidden_global_offset_y
      - .offset:         144
        .size:           8
        .value_kind:     hidden_global_offset_z
      - .offset:         152
        .size:           2
        .value_kind:     hidden_grid_dims
    .group_segment_fixed_size: 0
    .kernarg_segment_align: 8
    .kernarg_segment_size: 344
    .language:       OpenCL C
    .language_version:
      - 2
      - 0
    .max_flat_workgroup_size: 1024
    .name:           _Z19mapDet2Slice_kernelPdS_dddPKdS1_S1_S1_iii
    .private_segment_fixed_size: 0
    .sgpr_count:     26
    .sgpr_spill_count: 0
    .symbol:         _Z19mapDet2Slice_kernelPdS_dddPKdS1_S1_S1_iii.kd
    .uniform_work_group_size: 1
    .uses_dynamic_stack: false
    .vgpr_count:     22
    .vgpr_spill_count: 0
    .wavefront_size: 64
  - .agpr_count:     0
    .args:
      - .address_space:  global
        .offset:         0
        .size:           8
        .value_kind:     global_buffer
      - .offset:         8
        .size:           4
        .value_kind:     by_value
      - .offset:         12
        .size:           4
        .value_kind:     by_value
      - .offset:         16
        .size:           1
        .value_kind:     by_value
      - .offset:         20
        .size:           4
        .value_kind:     by_value
      - .offset:         24
        .size:           4
        .value_kind:     by_value
      - .offset:         28
        .size:           4
        .value_kind:     by_value
      - .offset:         32
        .size:           4
        .value_kind:     hidden_block_count_x
      - .offset:         36
        .size:           4
        .value_kind:     hidden_block_count_y
      - .offset:         40
        .size:           4
        .value_kind:     hidden_block_count_z
      - .offset:         44
        .size:           2
        .value_kind:     hidden_group_size_x
      - .offset:         46
        .size:           2
        .value_kind:     hidden_group_size_y
      - .offset:         48
        .size:           2
        .value_kind:     hidden_group_size_z
      - .offset:         50
        .size:           2
        .value_kind:     hidden_remainder_x
      - .offset:         52
        .size:           2
        .value_kind:     hidden_remainder_y
      - .offset:         54
        .size:           2
        .value_kind:     hidden_remainder_z
      - .offset:         72
        .size:           8
        .value_kind:     hidden_global_offset_x
      - .offset:         80
        .size:           8
        .value_kind:     hidden_global_offset_y
      - .offset:         88
        .size:           8
        .value_kind:     hidden_global_offset_z
      - .offset:         96
        .size:           2
        .value_kind:     hidden_grid_dims
    .group_segment_fixed_size: 0
    .kernarg_segment_align: 8
    .kernarg_segment_size: 288
    .language:       OpenCL C
    .language_version:
      - 2
      - 0
    .max_flat_workgroup_size: 1024
    .name:           _Z22img_integration_kernelPdiibiii
    .private_segment_fixed_size: 0
    .sgpr_count:     22
    .sgpr_spill_count: 0
    .symbol:         _Z22img_integration_kernelPdiibiii.kd
    .uniform_work_group_size: 1
    .uses_dynamic_stack: false
    .vgpr_count:     14
    .vgpr_spill_count: 0
    .wavefront_size: 64
  - .agpr_count:     0
    .args:
      - .actual_access:  write_only
        .address_space:  global
        .offset:         0
        .size:           8
        .value_kind:     global_buffer
      - .actual_access:  read_only
        .address_space:  global
        .offset:         8
        .size:           8
        .value_kind:     global_buffer
      - .actual_access:  read_only
        .address_space:  global
        .offset:         16
        .size:           8
        .value_kind:     global_buffer
      - .actual_access:  read_only
        .address_space:  global
        .offset:         24
        .size:           8
        .value_kind:     global_buffer
      - .actual_access:  read_only
        .address_space:  global
        .offset:         32
        .size:           8
        .value_kind:     global_buffer
      - .actual_access:  read_only
        .address_space:  global
        .offset:         40
        .size:           8
        .value_kind:     global_buffer
      - .offset:         48
        .size:           4
        .value_kind:     by_value
      - .offset:         52
        .size:           4
        .value_kind:     by_value
      - .offset:         56
        .size:           4
        .value_kind:     by_value
      - .offset:         60
        .size:           4
        .value_kind:     by_value
      - .offset:         64
        .size:           4
        .value_kind:     by_value
      - .offset:         68
        .size:           4
        .value_kind:     by_value
      - .offset:         72
        .size:           4
        .value_kind:     by_value
      - .offset:         80
        .size:           4
        .value_kind:     hidden_block_count_x
      - .offset:         84
        .size:           4
        .value_kind:     hidden_block_count_y
      - .offset:         88
        .size:           4
        .value_kind:     hidden_block_count_z
      - .offset:         92
        .size:           2
        .value_kind:     hidden_group_size_x
      - .offset:         94
        .size:           2
        .value_kind:     hidden_group_size_y
      - .offset:         96
        .size:           2
        .value_kind:     hidden_group_size_z
      - .offset:         98
        .size:           2
        .value_kind:     hidden_remainder_x
      - .offset:         100
        .size:           2
        .value_kind:     hidden_remainder_y
      - .offset:         102
        .size:           2
        .value_kind:     hidden_remainder_z
      - .offset:         120
        .size:           8
        .value_kind:     hidden_global_offset_x
      - .offset:         128
        .size:           8
        .value_kind:     hidden_global_offset_y
      - .offset:         136
        .size:           8
        .value_kind:     hidden_global_offset_z
      - .offset:         144
        .size:           2
        .value_kind:     hidden_grid_dims
    .group_segment_fixed_size: 0
    .kernarg_segment_align: 8
    .kernarg_segment_size: 336
    .language:       OpenCL C
    .language_version:
      - 2
      - 0
    .max_flat_workgroup_size: 1024
    .name:           _Z29bilinear_interpolation_kernelPdPKdS1_S1_S1_S1_iiiiiii
    .private_segment_fixed_size: 0
    .sgpr_count:     30
    .sgpr_spill_count: 0
    .symbol:         _Z29bilinear_interpolation_kernelPdPKdS1_S1_S1_S1_iiiiiii.kd
    .uniform_work_group_size: 1
    .uses_dynamic_stack: false
    .vgpr_count:     38
    .vgpr_spill_count: 0
    .wavefront_size: 64
  - .agpr_count:     0
    .args:
      - .address_space:  global
        .offset:         0
        .size:           8
        .value_kind:     global_buffer
      - .actual_access:  read_only
        .address_space:  global
        .offset:         8
        .size:           8
        .value_kind:     global_buffer
      - .offset:         16
        .size:           8
        .value_kind:     by_value
      - .offset:         24
        .size:           8
        .value_kind:     by_value
      - .offset:         32
        .size:           8
        .value_kind:     by_value
      - .actual_access:  read_only
        .address_space:  global
        .offset:         40
        .size:           8
        .value_kind:     global_buffer
      - .actual_access:  read_only
        .address_space:  global
        .offset:         48
        .size:           8
        .value_kind:     global_buffer
      - .actual_access:  read_only
        .address_space:  global
        .offset:         56
        .size:           8
        .value_kind:     global_buffer
      - .offset:         64
        .size:           4
        .value_kind:     by_value
      - .offset:         68
        .size:           4
        .value_kind:     by_value
      - .offset:         72
        .size:           4
        .value_kind:     by_value
      - .offset:         76
        .size:           4
        .value_kind:     by_value
      - .offset:         80
        .size:           8
        .value_kind:     by_value
      - .offset:         88
        .size:           8
        .value_kind:     by_value
      - .offset:         96
        .size:           8
        .value_kind:     by_value
      - .offset:         104
        .size:           8
        .value_kind:     by_value
      - .offset:         112
        .size:           8
        .value_kind:     by_value
      - .offset:         120
        .size:           4
        .value_kind:     by_value
      - .offset:         128
        .size:           4
        .value_kind:     hidden_block_count_x
      - .offset:         132
        .size:           4
        .value_kind:     hidden_block_count_y
      - .offset:         136
        .size:           4
        .value_kind:     hidden_block_count_z
      - .offset:         140
        .size:           2
        .value_kind:     hidden_group_size_x
      - .offset:         142
        .size:           2
        .value_kind:     hidden_group_size_y
      - .offset:         144
        .size:           2
        .value_kind:     hidden_group_size_z
      - .offset:         146
        .size:           2
        .value_kind:     hidden_remainder_x
      - .offset:         148
        .size:           2
        .value_kind:     hidden_remainder_y
      - .offset:         150
        .size:           2
        .value_kind:     hidden_remainder_z
      - .offset:         168
        .size:           8
        .value_kind:     hidden_global_offset_x
      - .offset:         176
        .size:           8
        .value_kind:     hidden_global_offset_y
      - .offset:         184
        .size:           8
        .value_kind:     hidden_global_offset_z
      - .offset:         192
        .size:           2
        .value_kind:     hidden_grid_dims
    .group_segment_fixed_size: 0
    .kernarg_segment_align: 8
    .kernarg_segment_size: 384
    .language:       OpenCL C
    .language_version:
      - 2
      - 0
    .max_flat_workgroup_size: 1024
    .name:           _Z22differentiation_kernelPdPKddddS1_S1_S1_iiiidddddi
    .private_segment_fixed_size: 0
    .sgpr_count:     46
    .sgpr_spill_count: 0
    .symbol:         _Z22differentiation_kernelPdPKddddS1_S1_S1_iiiidddddi.kd
    .uniform_work_group_size: 1
    .uses_dynamic_stack: false
    .vgpr_count:     60
    .vgpr_spill_count: 0
    .wavefront_size: 64
  - .agpr_count:     0
    .args:
      - .address_space:  global
        .offset:         0
        .size:           8
        .value_kind:     global_buffer
      - .offset:         8
        .size:           4
        .value_kind:     by_value
      - .offset:         12
        .size:           4
        .value_kind:     by_value
      - .offset:         16
        .size:           4
        .value_kind:     by_value
      - .offset:         20
        .size:           4
        .value_kind:     by_value
      - .offset:         24
        .size:           4
        .value_kind:     hidden_block_count_x
      - .offset:         28
        .size:           4
        .value_kind:     hidden_block_count_y
      - .offset:         32
        .size:           4
        .value_kind:     hidden_block_count_z
      - .offset:         36
        .size:           2
        .value_kind:     hidden_group_size_x
      - .offset:         38
        .size:           2
        .value_kind:     hidden_group_size_y
      - .offset:         40
        .size:           2
        .value_kind:     hidden_group_size_z
      - .offset:         42
        .size:           2
        .value_kind:     hidden_remainder_x
      - .offset:         44
        .size:           2
        .value_kind:     hidden_remainder_y
      - .offset:         46
        .size:           2
        .value_kind:     hidden_remainder_z
      - .offset:         64
        .size:           8
        .value_kind:     hidden_global_offset_x
      - .offset:         72
        .size:           8
        .value_kind:     hidden_global_offset_y
      - .offset:         80
        .size:           8
        .value_kind:     hidden_global_offset_z
      - .offset:         88
        .size:           2
        .value_kind:     hidden_grid_dims
    .group_segment_fixed_size: 0
    .kernarg_segment_align: 8
    .kernarg_segment_size: 280
    .language:       OpenCL C
    .language_version:
      - 2
      - 0
    .max_flat_workgroup_size: 1024
    .name:           _Z15division_kernelPdiiii
    .private_segment_fixed_size: 0
    .sgpr_count:     18
    .sgpr_spill_count: 0
    .symbol:         _Z15division_kernelPdiiii.kd
    .uniform_work_group_size: 1
    .uses_dynamic_stack: false
    .vgpr_count:     14
    .vgpr_spill_count: 0
    .wavefront_size: 64
amdhsa.target:   amdgcn-amd-amdhsa--gfx950
amdhsa.version:
  - 1
  - 2
...

	.end_amdgpu_metadata
